;; amdgpu-corpus repo=ROCm/rocFFT kind=compiled arch=gfx906 opt=O3
	.text
	.amdgcn_target "amdgcn-amd-amdhsa--gfx906"
	.amdhsa_code_object_version 6
	.protected	fft_rtc_back_len1870_factors_17_10_11_wgs_187_tpt_187_halfLds_sp_ip_CI_unitstride_sbrr_R2C_dirReg ; -- Begin function fft_rtc_back_len1870_factors_17_10_11_wgs_187_tpt_187_halfLds_sp_ip_CI_unitstride_sbrr_R2C_dirReg
	.globl	fft_rtc_back_len1870_factors_17_10_11_wgs_187_tpt_187_halfLds_sp_ip_CI_unitstride_sbrr_R2C_dirReg
	.p2align	8
	.type	fft_rtc_back_len1870_factors_17_10_11_wgs_187_tpt_187_halfLds_sp_ip_CI_unitstride_sbrr_R2C_dirReg,@function
fft_rtc_back_len1870_factors_17_10_11_wgs_187_tpt_187_halfLds_sp_ip_CI_unitstride_sbrr_R2C_dirReg: ; @fft_rtc_back_len1870_factors_17_10_11_wgs_187_tpt_187_halfLds_sp_ip_CI_unitstride_sbrr_R2C_dirReg
; %bb.0:
	s_load_dwordx2 s[2:3], s[4:5], 0x50
	s_load_dwordx4 s[8:11], s[4:5], 0x0
	s_load_dwordx2 s[12:13], s[4:5], 0x18
	v_mul_u32_u24_e32 v1, 0x15f, v0
	v_add_u32_sdwa v5, s6, v1 dst_sel:DWORD dst_unused:UNUSED_PAD src0_sel:DWORD src1_sel:WORD_1
	v_mov_b32_e32 v3, 0
	s_waitcnt lgkmcnt(0)
	v_cmp_lt_u64_e64 s[0:1], s[10:11], 2
	v_mov_b32_e32 v1, 0
	v_mov_b32_e32 v6, v3
	s_and_b64 vcc, exec, s[0:1]
	v_mov_b32_e32 v2, 0
	s_cbranch_vccnz .LBB0_8
; %bb.1:
	s_load_dwordx2 s[0:1], s[4:5], 0x10
	s_add_u32 s6, s12, 8
	s_addc_u32 s7, s13, 0
	v_mov_b32_e32 v1, 0
	v_mov_b32_e32 v2, 0
	s_waitcnt lgkmcnt(0)
	s_add_u32 s14, s0, 8
	s_addc_u32 s15, s1, 0
	s_mov_b64 s[16:17], 1
.LBB0_2:                                ; =>This Inner Loop Header: Depth=1
	s_load_dwordx2 s[18:19], s[14:15], 0x0
                                        ; implicit-def: $vgpr7_vgpr8
	s_waitcnt lgkmcnt(0)
	v_or_b32_e32 v4, s19, v6
	v_cmp_ne_u64_e32 vcc, 0, v[3:4]
	s_and_saveexec_b64 s[0:1], vcc
	s_xor_b64 s[20:21], exec, s[0:1]
	s_cbranch_execz .LBB0_4
; %bb.3:                                ;   in Loop: Header=BB0_2 Depth=1
	v_cvt_f32_u32_e32 v4, s18
	v_cvt_f32_u32_e32 v7, s19
	s_sub_u32 s0, 0, s18
	s_subb_u32 s1, 0, s19
	v_mac_f32_e32 v4, 0x4f800000, v7
	v_rcp_f32_e32 v4, v4
	v_mul_f32_e32 v4, 0x5f7ffffc, v4
	v_mul_f32_e32 v7, 0x2f800000, v4
	v_trunc_f32_e32 v7, v7
	v_mac_f32_e32 v4, 0xcf800000, v7
	v_cvt_u32_f32_e32 v7, v7
	v_cvt_u32_f32_e32 v4, v4
	v_mul_lo_u32 v8, s0, v7
	v_mul_hi_u32 v9, s0, v4
	v_mul_lo_u32 v11, s1, v4
	v_mul_lo_u32 v10, s0, v4
	v_add_u32_e32 v8, v9, v8
	v_add_u32_e32 v8, v8, v11
	v_mul_hi_u32 v9, v4, v10
	v_mul_lo_u32 v11, v4, v8
	v_mul_hi_u32 v13, v4, v8
	v_mul_hi_u32 v12, v7, v10
	v_mul_lo_u32 v10, v7, v10
	v_mul_hi_u32 v14, v7, v8
	v_add_co_u32_e32 v9, vcc, v9, v11
	v_addc_co_u32_e32 v11, vcc, 0, v13, vcc
	v_mul_lo_u32 v8, v7, v8
	v_add_co_u32_e32 v9, vcc, v9, v10
	v_addc_co_u32_e32 v9, vcc, v11, v12, vcc
	v_addc_co_u32_e32 v10, vcc, 0, v14, vcc
	v_add_co_u32_e32 v8, vcc, v9, v8
	v_addc_co_u32_e32 v9, vcc, 0, v10, vcc
	v_add_co_u32_e32 v4, vcc, v4, v8
	v_addc_co_u32_e32 v7, vcc, v7, v9, vcc
	v_mul_lo_u32 v8, s0, v7
	v_mul_hi_u32 v9, s0, v4
	v_mul_lo_u32 v10, s1, v4
	v_mul_lo_u32 v11, s0, v4
	v_add_u32_e32 v8, v9, v8
	v_add_u32_e32 v8, v8, v10
	v_mul_lo_u32 v12, v4, v8
	v_mul_hi_u32 v13, v4, v11
	v_mul_hi_u32 v14, v4, v8
	;; [unrolled: 1-line block ×3, first 2 shown]
	v_mul_lo_u32 v11, v7, v11
	v_mul_hi_u32 v9, v7, v8
	v_add_co_u32_e32 v12, vcc, v13, v12
	v_addc_co_u32_e32 v13, vcc, 0, v14, vcc
	v_mul_lo_u32 v8, v7, v8
	v_add_co_u32_e32 v11, vcc, v12, v11
	v_addc_co_u32_e32 v10, vcc, v13, v10, vcc
	v_addc_co_u32_e32 v9, vcc, 0, v9, vcc
	v_add_co_u32_e32 v8, vcc, v10, v8
	v_addc_co_u32_e32 v9, vcc, 0, v9, vcc
	v_add_co_u32_e32 v4, vcc, v4, v8
	v_addc_co_u32_e32 v9, vcc, v7, v9, vcc
	v_mad_u64_u32 v[7:8], s[0:1], v5, v9, 0
	v_mul_hi_u32 v10, v5, v4
	v_add_co_u32_e32 v11, vcc, v10, v7
	v_addc_co_u32_e32 v12, vcc, 0, v8, vcc
	v_mad_u64_u32 v[7:8], s[0:1], v6, v4, 0
	v_mad_u64_u32 v[9:10], s[0:1], v6, v9, 0
	v_add_co_u32_e32 v4, vcc, v11, v7
	v_addc_co_u32_e32 v4, vcc, v12, v8, vcc
	v_addc_co_u32_e32 v7, vcc, 0, v10, vcc
	v_add_co_u32_e32 v4, vcc, v4, v9
	v_addc_co_u32_e32 v9, vcc, 0, v7, vcc
	v_mul_lo_u32 v10, s19, v4
	v_mul_lo_u32 v11, s18, v9
	v_mad_u64_u32 v[7:8], s[0:1], s18, v4, 0
	v_add3_u32 v8, v8, v11, v10
	v_sub_u32_e32 v10, v6, v8
	v_mov_b32_e32 v11, s19
	v_sub_co_u32_e32 v7, vcc, v5, v7
	v_subb_co_u32_e64 v10, s[0:1], v10, v11, vcc
	v_subrev_co_u32_e64 v11, s[0:1], s18, v7
	v_subbrev_co_u32_e64 v10, s[0:1], 0, v10, s[0:1]
	v_cmp_le_u32_e64 s[0:1], s19, v10
	v_cndmask_b32_e64 v12, 0, -1, s[0:1]
	v_cmp_le_u32_e64 s[0:1], s18, v11
	v_cndmask_b32_e64 v11, 0, -1, s[0:1]
	v_cmp_eq_u32_e64 s[0:1], s19, v10
	v_cndmask_b32_e64 v10, v12, v11, s[0:1]
	v_add_co_u32_e64 v11, s[0:1], 2, v4
	v_addc_co_u32_e64 v12, s[0:1], 0, v9, s[0:1]
	v_add_co_u32_e64 v13, s[0:1], 1, v4
	v_addc_co_u32_e64 v14, s[0:1], 0, v9, s[0:1]
	v_subb_co_u32_e32 v8, vcc, v6, v8, vcc
	v_cmp_ne_u32_e64 s[0:1], 0, v10
	v_cmp_le_u32_e32 vcc, s19, v8
	v_cndmask_b32_e64 v10, v14, v12, s[0:1]
	v_cndmask_b32_e64 v12, 0, -1, vcc
	v_cmp_le_u32_e32 vcc, s18, v7
	v_cndmask_b32_e64 v7, 0, -1, vcc
	v_cmp_eq_u32_e32 vcc, s19, v8
	v_cndmask_b32_e32 v7, v12, v7, vcc
	v_cmp_ne_u32_e32 vcc, 0, v7
	v_cndmask_b32_e64 v7, v13, v11, s[0:1]
	v_cndmask_b32_e32 v8, v9, v10, vcc
	v_cndmask_b32_e32 v7, v4, v7, vcc
.LBB0_4:                                ;   in Loop: Header=BB0_2 Depth=1
	s_andn2_saveexec_b64 s[0:1], s[20:21]
	s_cbranch_execz .LBB0_6
; %bb.5:                                ;   in Loop: Header=BB0_2 Depth=1
	v_cvt_f32_u32_e32 v4, s18
	s_sub_i32 s20, 0, s18
	v_rcp_iflag_f32_e32 v4, v4
	v_mul_f32_e32 v4, 0x4f7ffffe, v4
	v_cvt_u32_f32_e32 v4, v4
	v_mul_lo_u32 v7, s20, v4
	v_mul_hi_u32 v7, v4, v7
	v_add_u32_e32 v4, v4, v7
	v_mul_hi_u32 v4, v5, v4
	v_mul_lo_u32 v7, v4, s18
	v_add_u32_e32 v8, 1, v4
	v_sub_u32_e32 v7, v5, v7
	v_subrev_u32_e32 v9, s18, v7
	v_cmp_le_u32_e32 vcc, s18, v7
	v_cndmask_b32_e32 v7, v7, v9, vcc
	v_cndmask_b32_e32 v4, v4, v8, vcc
	v_add_u32_e32 v8, 1, v4
	v_cmp_le_u32_e32 vcc, s18, v7
	v_cndmask_b32_e32 v7, v4, v8, vcc
	v_mov_b32_e32 v8, v3
.LBB0_6:                                ;   in Loop: Header=BB0_2 Depth=1
	s_or_b64 exec, exec, s[0:1]
	v_mul_lo_u32 v4, v8, s18
	v_mul_lo_u32 v11, v7, s19
	v_mad_u64_u32 v[9:10], s[0:1], v7, s18, 0
	s_load_dwordx2 s[0:1], s[6:7], 0x0
	s_add_u32 s16, s16, 1
	v_add3_u32 v4, v10, v11, v4
	v_sub_co_u32_e32 v5, vcc, v5, v9
	v_subb_co_u32_e32 v4, vcc, v6, v4, vcc
	s_waitcnt lgkmcnt(0)
	v_mul_lo_u32 v4, s0, v4
	v_mul_lo_u32 v6, s1, v5
	v_mad_u64_u32 v[1:2], s[0:1], s0, v5, v[1:2]
	s_addc_u32 s17, s17, 0
	s_add_u32 s6, s6, 8
	v_add3_u32 v2, v6, v2, v4
	v_mov_b32_e32 v4, s10
	v_mov_b32_e32 v5, s11
	s_addc_u32 s7, s7, 0
	v_cmp_ge_u64_e32 vcc, s[16:17], v[4:5]
	s_add_u32 s14, s14, 8
	s_addc_u32 s15, s15, 0
	s_cbranch_vccnz .LBB0_9
; %bb.7:                                ;   in Loop: Header=BB0_2 Depth=1
	v_mov_b32_e32 v5, v7
	v_mov_b32_e32 v6, v8
	s_branch .LBB0_2
.LBB0_8:
	v_mov_b32_e32 v8, v6
	v_mov_b32_e32 v7, v5
.LBB0_9:
	s_lshl_b64 s[0:1], s[10:11], 3
	s_add_u32 s0, s12, s0
	s_addc_u32 s1, s13, s1
	s_load_dwordx2 s[6:7], s[0:1], 0x0
	s_load_dwordx2 s[10:11], s[4:5], 0x20
	s_waitcnt lgkmcnt(0)
	v_mad_u64_u32 v[1:2], s[0:1], s6, v7, v[1:2]
	s_mov_b32 s0, 0x15e75bc
	v_mul_lo_u32 v3, s6, v8
	v_mul_lo_u32 v4, s7, v7
	v_mul_hi_u32 v5, v0, s0
	v_cmp_gt_u64_e64 s[0:1], s[10:11], v[7:8]
	v_add3_u32 v2, v4, v2, v3
	v_mul_u32_u24_e32 v3, 0xbb, v5
	v_sub_u32_e32 v32, v0, v3
	v_lshlrev_b64 v[34:35], 3, v[1:2]
	v_lshl_add_u32 v46, v32, 3, 0
	s_and_saveexec_b64 s[4:5], s[0:1]
	s_cbranch_execz .LBB0_11
; %bb.10:
	v_mov_b32_e32 v33, 0
	v_mov_b32_e32 v0, s3
	v_add_co_u32_e32 v2, vcc, s2, v34
	v_addc_co_u32_e32 v3, vcc, v0, v35, vcc
	v_lshlrev_b64 v[0:1], 3, v[32:33]
	s_movk_i32 s6, 0x1000
	v_add_co_u32_e32 v0, vcc, v2, v0
	v_addc_co_u32_e32 v1, vcc, v3, v1, vcc
	v_add_co_u32_e32 v2, vcc, s6, v0
	v_addc_co_u32_e32 v3, vcc, 0, v1, vcc
	;; [unrolled: 2-line block ×3, first 2 shown]
	global_load_dwordx2 v[4:5], v[0:1], off
	global_load_dwordx2 v[6:7], v[0:1], off offset:1496
	global_load_dwordx2 v[8:9], v[0:1], off offset:2992
	;; [unrolled: 1-line block ×3, first 2 shown]
	v_add_co_u32_e32 v0, vcc, 0x3000, v0
	global_load_dwordx2 v[14:15], v[2:3], off offset:1888
	global_load_dwordx2 v[16:17], v[2:3], off offset:3384
	;; [unrolled: 1-line block ×4, first 2 shown]
	v_addc_co_u32_e32 v1, vcc, 0, v1, vcc
	global_load_dwordx2 v[2:3], v[12:13], off offset:3776
	global_load_dwordx2 v[22:23], v[0:1], off offset:1176
	v_add_u32_e32 v0, 0xa00, v46
	v_add_u32_e32 v1, 0x1600, v46
	;; [unrolled: 1-line block ×3, first 2 shown]
	s_waitcnt vmcnt(8)
	ds_write2_b64 v46, v[4:5], v[6:7] offset1:187
	s_waitcnt vmcnt(6)
	ds_write2_b64 v0, v[8:9], v[10:11] offset0:54 offset1:241
	s_waitcnt vmcnt(4)
	ds_write2_b64 v1, v[14:15], v[16:17] offset0:44 offset1:231
	;; [unrolled: 2-line block ×3, first 2 shown]
	v_add_u32_e32 v0, 0x2e00, v46
	s_waitcnt vmcnt(0)
	ds_write2_b64 v0, v[2:3], v[22:23] offset0:24 offset1:211
.LBB0_11:
	s_or_b64 exec, exec, s[4:5]
	v_add_u32_e32 v4, 0x400, v46
	s_waitcnt lgkmcnt(0)
	s_barrier
	ds_read2_b64 v[0:3], v46 offset1:110
	ds_read_b64 v[44:45], v46 offset:14080
	ds_read2_b64 v[16:19], v4 offset0:92 offset1:202
	v_add_u32_e32 v4, 0x3000, v46
	ds_read2_b64 v[4:7], v4 offset0:4 offset1:114
	s_mov_b32 s6, 0xbf59a7d5
	s_waitcnt lgkmcnt(2)
	v_sub_f32_e32 v62, v3, v45
	v_add_f32_e32 v33, v44, v2
	v_mul_f32_e32 v40, 0xbf06c442, v62
	s_waitcnt lgkmcnt(0)
	v_sub_f32_e32 v63, v17, v7
	v_fma_f32 v8, v33, s6, -v40
	s_mov_b32 s7, 0x3ee437d1
	v_add_f32_e32 v47, v6, v16
	v_mul_f32_e32 v42, 0x3f65296c, v63
	v_add_f32_e32 v65, v45, v3
	v_add_f32_e32 v8, v0, v8
	v_fma_f32 v9, v47, s7, -v42
	v_mul_f32_e32 v41, 0xbf59a7d5, v65
	v_add_f32_e32 v66, v7, v17
	v_add_f32_e32 v8, v9, v8
	v_sub_f32_e32 v49, v2, v44
	v_mov_b32_e32 v9, v41
	v_mul_f32_e32 v94, 0x3ee437d1, v66
	v_fmac_f32_e32 v9, 0xbf06c442, v49
	v_sub_f32_e32 v50, v16, v6
	v_mov_b32_e32 v10, v94
	v_sub_f32_e32 v64, v19, v5
	v_add_f32_e32 v9, v1, v9
	v_fmac_f32_e32 v10, 0x3f65296c, v50
	s_mov_b32 s10, 0x3dbcf732
	v_add_f32_e32 v48, v4, v18
	v_mul_f32_e32 v43, 0xbf7ee86f, v64
	v_add_f32_e32 v12, v10, v9
	v_fma_f32 v9, v48, s10, -v43
	v_add_f32_e32 v13, v9, v8
	v_add_u32_e32 v8, 0xc00, v46
	v_add_u32_e32 v9, 0x2800, v46
	ds_read2_b64 v[20:23], v8 offset0:56 offset1:166
	ds_read2_b64 v[8:11], v9 offset0:40 offset1:150
	v_add_f32_e32 v68, v5, v19
	v_mul_f32_e32 v95, 0x3dbcf732, v68
	v_sub_f32_e32 v52, v18, v4
	v_mov_b32_e32 v14, v95
	s_waitcnt lgkmcnt(0)
	v_sub_f32_e32 v67, v21, v11
	v_fmac_f32_e32 v14, 0xbf7ee86f, v52
	s_mov_b32 s11, 0xbf1a4643
	v_add_f32_e32 v51, v10, v20
	v_mul_f32_e32 v96, 0x3f4c4adb, v67
	v_add_f32_e32 v70, v11, v21
	v_add_f32_e32 v12, v14, v12
	v_fma_f32 v14, v51, s11, -v96
	v_mul_f32_e32 v98, 0xbf1a4643, v70
	v_add_f32_e32 v13, v14, v13
	v_sub_f32_e32 v54, v20, v10
	v_mov_b32_e32 v14, v98
	v_sub_f32_e32 v69, v23, v9
	v_fmac_f32_e32 v14, 0x3f4c4adb, v54
	s_mov_b32 s12, 0x3f6eb680
	v_add_f32_e32 v53, v8, v22
	v_mul_f32_e32 v97, 0xbeb8f4ab, v69
	v_add_f32_e32 v28, v14, v12
	v_fma_f32 v12, v53, s12, -v97
	v_add_f32_e32 v29, v12, v13
	v_add_u32_e32 v12, 0x1400, v46
	v_add_u32_e32 v13, 0x2000, v46
	ds_read2_b64 v[24:27], v12 offset0:20 offset1:130
	ds_read2_b64 v[12:15], v13 offset0:76 offset1:186
	v_add_f32_e32 v72, v9, v23
	v_mul_f32_e32 v99, 0x3f6eb680, v72
	v_sub_f32_e32 v56, v22, v8
	v_mov_b32_e32 v30, v99
	s_waitcnt lgkmcnt(0)
	v_sub_f32_e32 v71, v25, v15
	v_fmac_f32_e32 v30, 0xbeb8f4ab, v56
	s_mov_b32 s13, 0xbf7ba420
	v_add_f32_e32 v55, v14, v24
	v_mul_f32_e32 v100, 0xbe3c28d5, v71
	v_add_f32_e32 v75, v15, v25
	v_add_f32_e32 v28, v30, v28
	v_fma_f32 v30, v55, s13, -v100
	v_mul_f32_e32 v102, 0xbf7ba420, v75
	v_add_f32_e32 v29, v30, v29
	v_sub_f32_e32 v58, v24, v14
	v_mov_b32_e32 v30, v102
	v_sub_f32_e32 v73, v27, v13
	v_fmac_f32_e32 v30, 0xbe3c28d5, v58
	s_mov_b32 s14, 0x3f3d2fb0
	v_add_f32_e32 v57, v12, v26
	v_mul_f32_e32 v101, 0x3f2c7751, v73
	v_add_f32_e32 v36, v30, v28
	v_fma_f32 v28, v57, s14, -v101
	v_add_f32_e32 v37, v28, v29
	v_add_u32_e32 v28, 0x1800, v46
	ds_read2_b64 v[28:31], v28 offset0:112 offset1:222
	v_add_f32_e32 v77, v13, v27
	v_mul_f32_e32 v104, 0x3f3d2fb0, v77
	v_sub_f32_e32 v60, v26, v12
	v_mov_b32_e32 v38, v104
	s_waitcnt lgkmcnt(0)
	v_sub_f32_e32 v74, v29, v31
	v_fmac_f32_e32 v38, 0x3f2c7751, v60
	s_mov_b32 s15, 0xbe8c1d8e
	v_add_f32_e32 v59, v30, v28
	v_mul_f32_e32 v103, 0xbf763a35, v74
	v_add_f32_e32 v76, v31, v29
	v_add_f32_e32 v38, v38, v36
	v_fma_f32 v36, v59, s15, -v103
	v_mul_f32_e32 v105, 0xbe8c1d8e, v76
	v_add_f32_e32 v36, v36, v37
	v_sub_f32_e32 v61, v28, v30
	v_mov_b32_e32 v37, v105
	v_fmac_f32_e32 v37, 0xbf763a35, v61
	s_movk_i32 s4, 0x6e
	v_add_f32_e32 v37, v37, v38
	v_cmp_gt_u32_e32 vcc, s4, v32
	s_barrier
	s_and_saveexec_b64 s[4:5], vcc
	s_cbranch_execz .LBB0_13
; %bb.12:
	v_mul_f32_e32 v79, 0xbf7ba420, v65
	v_mov_b32_e32 v38, v79
	v_mul_f32_e32 v80, 0x3f6eb680, v66
	v_fmac_f32_e32 v38, 0x3e3c28d5, v49
	v_mov_b32_e32 v39, v80
	v_add_f32_e32 v38, v1, v38
	v_fmac_f32_e32 v39, 0xbeb8f4ab, v50
	v_mul_f32_e32 v81, 0xbf59a7d5, v68
	v_add_f32_e32 v38, v39, v38
	v_mov_b32_e32 v39, v81
	v_fmac_f32_e32 v39, 0x3f06c442, v52
	v_mul_f32_e32 v82, 0x3f3d2fb0, v70
	v_add_f32_e32 v38, v39, v38
	v_mov_b32_e32 v39, v82
	;; [unrolled: 4-line block ×7, first 2 shown]
	v_mul_f32_e32 v87, 0x3eb8f4ab, v63
	v_fmac_f32_e32 v38, 0xbf7ba420, v33
	v_mov_b32_e32 v88, v87
	v_add_f32_e32 v38, v0, v38
	v_fmac_f32_e32 v88, 0x3f6eb680, v47
	v_add_f32_e32 v38, v88, v38
	v_mul_f32_e32 v88, 0xbf06c442, v64
	v_mov_b32_e32 v89, v88
	v_fmac_f32_e32 v89, 0xbf59a7d5, v48
	v_add_f32_e32 v38, v89, v38
	v_mul_f32_e32 v89, 0x3f2c7751, v67
	v_mov_b32_e32 v90, v89
	;; [unrolled: 4-line block ×4, first 2 shown]
	v_fmac_f32_e32 v92, 0x3ee437d1, v55
	v_mul_f32_e32 v107, 0xbf06c442, v49
	v_add_f32_e32 v38, v92, v38
	v_mul_f32_e32 v92, 0xbf763a35, v73
	v_mul_f32_e32 v106, 0xbf59a7d5, v33
	;; [unrolled: 1-line block ×3, first 2 shown]
	v_mov_b32_e32 v93, v92
	v_sub_f32_e32 v41, v41, v107
	v_mul_f32_e32 v108, 0x3ee437d1, v47
	v_mul_f32_e32 v111, 0xbf7ee86f, v52
	v_fmac_f32_e32 v93, 0xbe8c1d8e, v57
	v_sub_f32_e32 v94, v94, v109
	v_add_f32_e32 v41, v1, v41
	v_add_f32_e32 v40, v106, v40
	v_mul_f32_e32 v110, 0x3dbcf732, v48
	v_mul_f32_e32 v113, 0x3f4c4adb, v54
	v_add_f32_e32 v38, v93, v38
	v_mul_f32_e32 v93, 0x3f7ee86f, v74
	v_add_f32_e32 v41, v94, v41
	v_sub_f32_e32 v95, v95, v111
	v_add_f32_e32 v40, v0, v40
	v_add_f32_e32 v42, v108, v42
	v_mul_f32_e32 v112, 0xbf1a4643, v51
	v_mul_f32_e32 v115, 0xbeb8f4ab, v56
	v_mov_b32_e32 v116, v93
	v_add_f32_e32 v41, v95, v41
	v_sub_f32_e32 v95, v98, v113
	v_add_f32_e32 v40, v42, v40
	v_add_f32_e32 v42, v110, v43
	v_mul_f32_e32 v114, 0x3f6eb680, v53
	v_fmac_f32_e32 v116, 0x3dbcf732, v59
	v_mul_f32_e32 v117, 0xbe3c28d5, v58
	v_add_f32_e32 v41, v95, v41
	v_sub_f32_e32 v95, v99, v115
	v_add_f32_e32 v40, v42, v40
	v_add_f32_e32 v42, v112, v96
	;; [unrolled: 1-line block ×3, first 2 shown]
	v_mul_f32_e32 v116, 0xbf7ba420, v55
	v_mul_f32_e32 v109, 0x3f2c7751, v60
	v_add_f32_e32 v41, v95, v41
	v_sub_f32_e32 v95, v102, v117
	v_add_f32_e32 v40, v42, v40
	v_add_f32_e32 v42, v114, v97
	v_mul_f32_e32 v107, 0x3f3d2fb0, v57
	v_mul_f32_e32 v111, 0xbf763a35, v61
	v_add_f32_e32 v41, v95, v41
	v_sub_f32_e32 v95, v104, v109
	v_add_f32_e32 v40, v42, v40
	v_add_f32_e32 v42, v116, v100
	v_mul_f32_e32 v94, 0xbe8c1d8e, v59
	v_add_f32_e32 v41, v95, v41
	v_sub_f32_e32 v95, v105, v111
	v_add_f32_e32 v40, v42, v40
	v_add_f32_e32 v42, v107, v101
	;; [unrolled: 1-line block ×5, first 2 shown]
	v_mul_f32_e32 v95, 0xbf1a4643, v65
	v_add_f32_e32 v40, v42, v40
	v_mov_b32_e32 v42, v95
	v_mul_f32_e32 v96, 0xbe8c1d8e, v66
	v_fmac_f32_e32 v42, 0x3f4c4adb, v49
	v_mov_b32_e32 v43, v96
	v_add_f32_e32 v42, v1, v42
	v_fmac_f32_e32 v43, 0xbf763a35, v50
	v_mul_f32_e32 v97, 0x3f6eb680, v68
	v_add_f32_e32 v42, v43, v42
	v_mov_b32_e32 v43, v97
	v_fmac_f32_e32 v43, 0x3eb8f4ab, v52
	v_mul_f32_e32 v98, 0xbf59a7d5, v70
	v_add_f32_e32 v42, v43, v42
	v_mov_b32_e32 v43, v98
	;; [unrolled: 4-line block ×7, first 2 shown]
	v_mul_f32_e32 v103, 0x3f763a35, v63
	v_fmac_f32_e32 v42, 0xbf1a4643, v33
	v_mov_b32_e32 v104, v103
	v_add_f32_e32 v42, v0, v42
	v_fmac_f32_e32 v104, 0xbe8c1d8e, v47
	v_add_f32_e32 v42, v104, v42
	v_mul_f32_e32 v104, 0xbeb8f4ab, v64
	v_mov_b32_e32 v105, v104
	v_fmac_f32_e32 v105, 0x3f6eb680, v48
	v_add_f32_e32 v42, v105, v42
	v_mul_f32_e32 v105, 0xbf06c442, v67
	v_mov_b32_e32 v106, v105
	;; [unrolled: 4-line block ×10, first 2 shown]
	v_fmac_f32_e32 v115, 0x3f65296c, v54
	v_add_f32_e32 v115, v115, v114
	v_mul_f32_e32 v114, 0xbf7ba420, v72
	v_add_f32_e32 v2, v0, v2
	v_mov_b32_e32 v116, v114
	v_add_f32_e32 v3, v1, v3
	v_add_f32_e32 v2, v2, v16
	v_mul_f32_e32 v16, 0x3dbcf732, v75
	v_fmac_f32_e32 v116, 0x3e3c28d5, v56
	v_add_f32_e32 v3, v3, v17
	v_add_f32_e32 v2, v2, v18
	v_mov_b32_e32 v17, v16
	v_mul_f32_e32 v18, 0x3f6eb680, v77
	v_add_f32_e32 v115, v116, v115
	v_add_f32_e32 v3, v3, v19
	v_fmac_f32_e32 v17, 0xbf7ee86f, v58
	v_mov_b32_e32 v19, v18
	v_add_f32_e32 v17, v17, v115
	v_fmac_f32_e32 v19, 0x3eb8f4ab, v60
	v_add_f32_e32 v19, v19, v17
	v_mul_f32_e32 v17, 0xbf763a35, v62
	v_mov_b32_e32 v115, v17
	v_add_f32_e32 v3, v3, v21
	v_add_f32_e32 v2, v2, v20
	v_mul_f32_e32 v21, 0x3f06c442, v63
	v_fmac_f32_e32 v115, 0xbe8c1d8e, v33
	v_add_f32_e32 v2, v2, v22
	v_mov_b32_e32 v20, v21
	v_mul_f32_e32 v22, 0x3f2c7751, v64
	v_add_f32_e32 v115, v0, v115
	v_add_f32_e32 v3, v3, v23
	v_fmac_f32_e32 v20, 0xbf59a7d5, v47
	v_mov_b32_e32 v23, v22
	v_add_f32_e32 v20, v20, v115
	v_fmac_f32_e32 v23, 0x3f3d2fb0, v48
	v_add_f32_e32 v20, v23, v20
	v_mul_f32_e32 v23, 0xbf65296c, v67
	v_add_f32_e32 v2, v2, v24
	v_mov_b32_e32 v115, v23
	v_add_f32_e32 v3, v3, v25
	v_add_f32_e32 v24, v2, v26
	v_mul_f32_e32 v26, 0xbe3c28d5, v69
	v_fmac_f32_e32 v115, 0x3ee437d1, v51
	v_add_f32_e32 v25, v3, v27
	v_mov_b32_e32 v2, v26
	v_mul_f32_e32 v27, 0x3f7ee86f, v71
	v_add_f32_e32 v20, v115, v20
	v_fmac_f32_e32 v2, 0xbf7ba420, v53
	v_mov_b32_e32 v3, v27
	v_add_f32_e32 v2, v2, v20
	v_fmac_f32_e32 v3, 0x3dbcf732, v55
	v_mul_f32_e32 v116, 0xbeb8f4ab, v73
	v_add_f32_e32 v2, v3, v2
	v_mov_b32_e32 v3, v116
	v_mul_f32_e32 v115, 0xbf1a4643, v76
	v_fmac_f32_e32 v3, 0x3f6eb680, v57
	v_add_f32_e32 v2, v3, v2
	v_mov_b32_e32 v3, v115
	v_fmac_f32_e32 v3, 0x3f4c4adb, v61
	v_mul_f32_e32 v117, 0xbf4c4adb, v74
	v_add_f32_e32 v3, v3, v19
	v_mov_b32_e32 v19, v117
	v_fmac_f32_e32 v19, 0xbf1a4643, v59
	v_add_f32_e32 v20, v24, v28
	v_add_f32_e32 v2, v19, v2
	v_add_f32_e32 v19, v25, v29
	v_add_f32_e32 v20, v20, v30
	v_add_f32_e32 v19, v19, v31
	v_add_f32_e32 v12, v20, v12
	v_add_f32_e32 v13, v19, v13
	v_add_f32_e32 v12, v12, v14
	v_add_f32_e32 v13, v13, v15
	v_add_f32_e32 v8, v12, v8
	v_mul_f32_e32 v119, 0xbf7ee86f, v62
	v_add_f32_e32 v9, v13, v9
	v_add_f32_e32 v8, v8, v10
	v_mov_b32_e32 v10, v119
	v_mul_f32_e32 v120, 0xbe3c28d5, v63
	v_add_f32_e32 v9, v9, v11
	v_fmac_f32_e32 v10, 0x3dbcf732, v33
	v_mov_b32_e32 v11, v120
	v_add_f32_e32 v4, v8, v4
	v_mul_f32_e32 v122, 0x3f763a35, v64
	v_add_f32_e32 v10, v0, v10
	v_fmac_f32_e32 v11, 0xbf7ba420, v47
	v_add_f32_e32 v5, v9, v5
	v_add_f32_e32 v4, v4, v6
	v_mov_b32_e32 v6, v122
	v_mul_f32_e32 v123, 0x3eb8f4ab, v67
	v_add_f32_e32 v10, v11, v10
	v_add_f32_e32 v5, v5, v7
	v_fmac_f32_e32 v6, 0xbe8c1d8e, v48
	v_mov_b32_e32 v7, v123
	v_add_f32_e32 v6, v6, v10
	v_fmac_f32_e32 v7, 0x3f6eb680, v51
	v_mul_f32_e32 v124, 0xbf65296c, v69
	v_add_f32_e32 v6, v7, v6
	v_mov_b32_e32 v7, v124
	v_fmac_f32_e32 v7, 0x3ee437d1, v53
	v_add_f32_e32 v4, v4, v44
	v_mul_f32_e32 v44, 0xbf06c442, v71
	v_add_f32_e32 v6, v7, v6
	v_mov_b32_e32 v7, v44
	v_add_f32_e32 v5, v5, v45
	v_fmac_f32_e32 v7, 0xbf59a7d5, v55
	v_mul_f32_e32 v45, 0x3f4c4adb, v73
	v_add_f32_e32 v6, v7, v6
	v_mov_b32_e32 v7, v45
	v_mul_f32_e32 v125, 0x3f2c7751, v74
	v_fmac_f32_e32 v7, 0xbf1a4643, v57
	v_mov_b32_e32 v8, v125
	v_add_f32_e32 v6, v7, v6
	v_fmac_f32_e32 v8, 0x3f3d2fb0, v59
	v_mul_f32_e32 v126, 0x3ee437d1, v65
	v_add_f32_e32 v6, v8, v6
	v_mov_b32_e32 v8, v126
	v_mul_f32_e32 v127, 0xbf1a4643, v66
	v_fmac_f32_e32 v8, 0x3f65296c, v49
	v_mov_b32_e32 v9, v127
	v_add_f32_e32 v8, v1, v8
	v_fmac_f32_e32 v9, 0x3f4c4adb, v50
	v_mul_f32_e32 v128, 0xbf7ba420, v68
	v_add_f32_e32 v8, v9, v8
	v_mov_b32_e32 v9, v128
	v_fmac_f32_e32 v9, 0xbe3c28d5, v52
	v_mul_f32_e32 v129, 0xbe8c1d8e, v70
	v_add_f32_e32 v8, v9, v8
	v_mov_b32_e32 v9, v129
	;; [unrolled: 4-line block ×6, first 2 shown]
	v_mul_f32_e32 v134, 0xbf4c4adb, v63
	v_fmac_f32_e32 v9, 0x3ee437d1, v33
	v_mov_b32_e32 v10, v134
	v_add_f32_e32 v9, v0, v9
	v_fmac_f32_e32 v10, 0xbf1a4643, v47
	v_mul_f32_e32 v135, 0x3e3c28d5, v64
	v_add_f32_e32 v9, v10, v9
	v_mov_b32_e32 v10, v135
	v_fmac_f32_e32 v10, 0xbf7ba420, v48
	v_mul_f32_e32 v136, 0x3f763a35, v67
	v_add_f32_e32 v9, v10, v9
	v_mov_b32_e32 v10, v136
	;; [unrolled: 4-line block ×8, first 2 shown]
	v_mul_f32_e32 v143, 0x3dbcf732, v66
	v_fmac_f32_e32 v10, 0x3f2c7751, v49
	v_mov_b32_e32 v11, v143
	v_add_f32_e32 v10, v1, v10
	v_fmac_f32_e32 v11, 0x3f7ee86f, v50
	v_mul_f32_e32 v144, 0xbf1a4643, v68
	v_add_f32_e32 v10, v11, v10
	v_mov_b32_e32 v11, v144
	v_fmac_f32_e32 v11, 0x3f4c4adb, v52
	v_mul_f32_e32 v145, 0xbf7ba420, v70
	v_add_f32_e32 v10, v11, v10
	v_mov_b32_e32 v11, v145
	;; [unrolled: 4-line block ×6, first 2 shown]
	v_mul_f32_e32 v150, 0xbf7ee86f, v63
	v_fmac_f32_e32 v11, 0x3f3d2fb0, v33
	v_mov_b32_e32 v12, v150
	v_add_f32_e32 v11, v0, v11
	v_fmac_f32_e32 v12, 0x3dbcf732, v47
	v_mul_f32_e32 v151, 0xbf4c4adb, v64
	v_add_f32_e32 v11, v12, v11
	v_mov_b32_e32 v12, v151
	v_fmac_f32_e32 v12, 0xbf1a4643, v48
	v_mul_f32_e32 v152, 0xbe3c28d5, v67
	v_add_f32_e32 v11, v12, v11
	v_mov_b32_e32 v12, v152
	;; [unrolled: 4-line block ×5, first 2 shown]
	v_fmac_f32_e32 v12, 0x3ee437d1, v57
	v_mul_f32_e32 v156, 0x3f6eb680, v76
	v_mul_f32_e32 v24, 0x3dbcf732, v65
	v_add_f32_e32 v12, v12, v11
	v_mov_b32_e32 v11, v156
	v_mov_b32_e32 v25, v24
	v_mul_f32_e32 v28, 0xbf7ba420, v66
	v_fmac_f32_e32 v11, 0xbeb8f4ab, v61
	v_mul_f32_e32 v157, 0x3eb8f4ab, v74
	v_fmac_f32_e32 v25, 0x3f7ee86f, v49
	v_mov_b32_e32 v29, v28
	v_add_f32_e32 v11, v11, v10
	v_mov_b32_e32 v10, v157
	v_add_f32_e32 v25, v1, v25
	v_fmac_f32_e32 v29, 0x3e3c28d5, v50
	v_fmac_f32_e32 v10, 0x3f6eb680, v59
	v_mul_f32_e32 v65, 0x3f6eb680, v65
	v_add_f32_e32 v25, v29, v25
	v_mul_f32_e32 v29, 0xbe8c1d8e, v68
	v_add_f32_e32 v10, v10, v12
	v_mov_b32_e32 v12, v65
	v_mul_f32_e32 v66, 0x3f3d2fb0, v66
	v_mov_b32_e32 v30, v29
	v_fmac_f32_e32 v12, 0x3eb8f4ab, v49
	v_mov_b32_e32 v13, v66
	v_fmac_f32_e32 v30, 0xbf763a35, v52
	v_add_f32_e32 v12, v1, v12
	v_fmac_f32_e32 v13, 0x3f2c7751, v50
	v_mul_f32_e32 v68, 0x3ee437d1, v68
	v_add_f32_e32 v25, v30, v25
	v_mul_f32_e32 v30, 0x3f6eb680, v70
	v_add_f32_e32 v12, v13, v12
	v_mov_b32_e32 v13, v68
	v_mov_b32_e32 v14, v30
	v_fmac_f32_e32 v13, 0x3f65296c, v52
	v_mul_f32_e32 v70, 0x3dbcf732, v70
	v_fmac_f32_e32 v14, 0xbeb8f4ab, v54
	v_add_f32_e32 v12, v13, v12
	v_mov_b32_e32 v13, v70
	v_add_f32_e32 v14, v14, v25
	v_mul_f32_e32 v25, 0x3ee437d1, v72
	v_fmac_f32_e32 v13, 0x3f7ee86f, v54
	v_mul_f32_e32 v72, 0xbe8c1d8e, v72
	v_mov_b32_e32 v15, v25
	v_add_f32_e32 v12, v13, v12
	v_mov_b32_e32 v13, v72
	v_fmac_f32_e32 v15, 0x3f65296c, v56
	v_mul_f32_e32 v31, 0xbf59a7d5, v75
	v_fmac_f32_e32 v13, 0x3f763a35, v56
	v_mul_f32_e32 v75, 0xbf1a4643, v75
	v_add_f32_e32 v14, v15, v14
	v_mov_b32_e32 v15, v31
	v_add_f32_e32 v12, v13, v12
	v_mov_b32_e32 v13, v75
	v_fmac_f32_e32 v15, 0x3f06c442, v58
	v_mul_f32_e32 v118, 0xbf1a4643, v77
	v_fmac_f32_e32 v13, 0x3f4c4adb, v58
	v_mul_f32_e32 v77, 0xbf59a7d5, v77
	v_add_f32_e32 v14, v15, v14
	v_mov_b32_e32 v15, v118
	v_mul_f32_e32 v121, 0x3f3d2fb0, v76
	v_add_f32_e32 v12, v13, v12
	v_mov_b32_e32 v13, v77
	v_fmac_f32_e32 v15, 0xbf4c4adb, v60
	v_mov_b32_e32 v7, v121
	v_fmac_f32_e32 v13, 0x3f06c442, v60
	v_mul_f32_e32 v62, 0xbeb8f4ab, v62
	v_add_f32_e32 v14, v15, v14
	v_fmac_f32_e32 v7, 0xbf2c7751, v61
	v_add_f32_e32 v12, v13, v12
	v_mov_b32_e32 v13, v62
	v_mul_f32_e32 v63, 0xbf2c7751, v63
	v_add_f32_e32 v7, v7, v14
	v_fmac_f32_e32 v13, 0x3f6eb680, v33
	v_mov_b32_e32 v14, v63
	v_add_f32_e32 v13, v0, v13
	v_fmac_f32_e32 v14, 0x3f3d2fb0, v47
	v_mul_f32_e32 v64, 0xbf65296c, v64
	v_add_f32_e32 v13, v14, v13
	v_mov_b32_e32 v14, v64
	v_fmac_f32_e32 v14, 0x3ee437d1, v48
	v_mul_f32_e32 v67, 0xbf7ee86f, v67
	v_add_f32_e32 v13, v14, v13
	v_mov_b32_e32 v14, v67
	;; [unrolled: 4-line block ×7, first 2 shown]
	v_fmac_f32_e32 v12, 0xbf7ba420, v59
	v_fmac_f32_e32 v79, 0xbe3c28d5, v49
	v_add_f32_e32 v12, v12, v14
	v_add_f32_e32 v14, v1, v79
	v_fmac_f32_e32 v80, 0x3eb8f4ab, v50
	v_fma_f32 v15, v33, s13, -v86
	v_add_f32_e32 v14, v80, v14
	v_fmac_f32_e32 v81, 0xbf06c442, v52
	v_add_f32_e32 v15, v0, v15
	v_fma_f32 v19, v47, s12, -v87
	v_add_f32_e32 v14, v81, v14
	v_fmac_f32_e32 v82, 0x3f2c7751, v54
	v_add_f32_e32 v15, v19, v15
	;; [unrolled: 4-line block ×5, first 2 shown]
	v_fma_f32 v19, v55, s7, -v91
	v_add_f32_e32 v14, v85, v14
	v_add_f32_e32 v15, v19, v15
	v_fma_f32 v19, v57, s15, -v92
	v_fmac_f32_e32 v78, 0x3f7ee86f, v61
	v_add_f32_e32 v19, v19, v15
	v_add_f32_e32 v15, v78, v14
	v_fma_f32 v14, v59, s10, -v93
	v_fmac_f32_e32 v95, 0xbf4c4adb, v49
	v_add_f32_e32 v14, v14, v19
	v_add_f32_e32 v19, v1, v95
	v_fmac_f32_e32 v96, 0x3f763a35, v50
	v_fma_f32 v20, v33, s11, -v102
	v_add_f32_e32 v19, v96, v19
	v_fmac_f32_e32 v97, 0xbeb8f4ab, v52
	v_add_f32_e32 v20, v0, v20
	v_fma_f32 v78, v47, s15, -v103
	v_add_f32_e32 v19, v97, v19
	v_fmac_f32_e32 v98, 0xbf06c442, v54
	v_add_f32_e32 v20, v78, v20
	;; [unrolled: 4-line block ×5, first 2 shown]
	v_fma_f32 v78, v55, s14, -v107
	v_add_f32_e32 v19, v101, v19
	v_add_f32_e32 v20, v78, v20
	v_fma_f32 v78, v57, s13, -v108
	v_fmac_f32_e32 v94, 0x3f65296c, v61
	v_add_f32_e32 v78, v78, v20
	v_add_f32_e32 v20, v94, v19
	v_fma_f32 v19, v59, s7, -v109
	v_fmac_f32_e32 v110, 0xbf763a35, v49
	v_add_f32_e32 v19, v19, v78
	v_add_f32_e32 v78, v1, v110
	v_fmac_f32_e32 v111, 0x3f06c442, v50
	v_add_f32_e32 v78, v111, v78
	v_fmac_f32_e32 v112, 0x3f2c7751, v52
	;; [unrolled: 2-line block ×6, first 2 shown]
	v_fma_f32 v17, v33, s15, -v17
	v_add_f32_e32 v16, v18, v16
	v_add_f32_e32 v17, v0, v17
	v_fma_f32 v18, v47, s6, -v21
	v_add_f32_e32 v17, v18, v17
	v_fma_f32 v18, v48, s14, -v22
	;; [unrolled: 2-line block ×4, first 2 shown]
	v_fmac_f32_e32 v115, 0xbf4c4adb, v61
	v_add_f32_e32 v18, v18, v17
	v_add_f32_e32 v17, v115, v16
	v_fma_f32 v16, v55, s10, -v27
	v_add_f32_e32 v16, v16, v18
	v_fma_f32 v18, v57, s12, -v116
	v_add_f32_e32 v16, v18, v16
	v_fma_f32 v18, v59, s11, -v117
	v_fmac_f32_e32 v24, 0xbf7ee86f, v49
	v_add_f32_e32 v16, v18, v16
	v_add_f32_e32 v18, v1, v24
	v_fmac_f32_e32 v28, 0xbe3c28d5, v50
	v_add_f32_e32 v18, v28, v18
	v_fmac_f32_e32 v29, 0x3f763a35, v52
	v_add_f32_e32 v18, v29, v18
	v_fmac_f32_e32 v30, 0x3eb8f4ab, v54
	v_add_f32_e32 v18, v30, v18
	v_fmac_f32_e32 v25, 0xbf65296c, v56
	v_add_f32_e32 v18, v25, v18
	v_fmac_f32_e32 v31, 0xbf06c442, v58
	v_add_f32_e32 v18, v31, v18
	v_fmac_f32_e32 v118, 0x3f4c4adb, v60
	v_add_f32_e32 v18, v118, v18
	v_fmac_f32_e32 v121, 0x3f2c7751, v61
	v_add_f32_e32 v22, v121, v18
	v_fma_f32 v18, v33, s10, -v119
	v_add_f32_e32 v18, v0, v18
	v_fma_f32 v21, v47, s13, -v120
	v_add_f32_e32 v18, v21, v18
	v_fma_f32 v21, v48, s15, -v122
	v_add_f32_e32 v18, v21, v18
	v_fma_f32 v21, v51, s12, -v123
	v_add_f32_e32 v18, v21, v18
	v_fma_f32 v21, v53, s7, -v124
	v_add_f32_e32 v18, v21, v18
	v_fma_f32 v21, v55, s6, -v44
	v_add_f32_e32 v18, v21, v18
	v_fma_f32 v21, v57, s11, -v45
	v_add_f32_e32 v18, v21, v18
	v_fma_f32 v21, v59, s14, -v125
	v_fmac_f32_e32 v126, 0xbf65296c, v49
	v_add_f32_e32 v21, v21, v18
	v_add_f32_e32 v18, v1, v126
	v_fmac_f32_e32 v127, 0xbf4c4adb, v50
	v_add_f32_e32 v18, v127, v18
	v_fmac_f32_e32 v128, 0x3e3c28d5, v52
	v_add_f32_e32 v18, v128, v18
	v_fmac_f32_e32 v129, 0x3f763a35, v54
	v_add_f32_e32 v18, v129, v18
	v_fmac_f32_e32 v130, 0x3f2c7751, v56
	v_add_f32_e32 v18, v130, v18
	v_fmac_f32_e32 v131, 0xbeb8f4ab, v58
	v_add_f32_e32 v18, v131, v18
	v_fmac_f32_e32 v132, 0xbf7ee86f, v60
	v_add_f32_e32 v18, v132, v18
	v_fmac_f32_e32 v140, 0xbf06c442, v61
	v_add_f32_e32 v24, v140, v18
	v_fma_f32 v18, v33, s7, -v133
	v_add_f32_e32 v18, v0, v18
	v_fma_f32 v23, v47, s11, -v134
	v_add_f32_e32 v18, v23, v18
	v_fma_f32 v23, v48, s13, -v135
	v_add_f32_e32 v18, v23, v18
	v_fma_f32 v23, v51, s15, -v136
	v_add_f32_e32 v18, v23, v18
	v_fma_f32 v23, v53, s14, -v137
	;; [unrolled: 32-line block ×3, first 2 shown]
	v_add_f32_e32 v18, v25, v18
	v_fma_f32 v25, v55, s15, -v154
	v_add_f32_e32 v18, v25, v18
	v_fma_f32 v25, v57, s7, -v155
	;; [unrolled: 2-line block ×4, first 2 shown]
	v_fmac_f32_e32 v65, 0xbeb8f4ab, v49
	v_add_f32_e32 v0, v0, v18
	v_fma_f32 v18, v47, s14, -v63
	v_add_f32_e32 v1, v1, v65
	v_fmac_f32_e32 v66, 0xbf2c7751, v50
	v_add_f32_e32 v0, v18, v0
	v_fma_f32 v18, v48, s7, -v64
	v_add_f32_e32 v1, v66, v1
	;; [unrolled: 4-line block ×7, first 2 shown]
	v_fmac_f32_e32 v76, 0xbe3c28d5, v61
	v_add_f32_e32 v0, v18, v0
	v_lshl_add_u32 v18, v32, 7, v46
	v_add_f32_e32 v1, v76, v1
	ds_write2_b64 v18, v[4:5], v[12:13] offset1:1
	ds_write2_b64 v18, v[10:11], v[8:9] offset0:2 offset1:3
	ds_write2_b64 v18, v[6:7], v[2:3] offset0:4 offset1:5
	;; [unrolled: 1-line block ×7, first 2 shown]
	ds_write_b64 v18, v[0:1] offset:128
.LBB0_13:
	s_or_b64 exec, exec, s[4:5]
	s_movk_i32 s4, 0xf1
	v_mul_lo_u16_sdwa v0, v32, s4 dst_sel:DWORD dst_unused:UNUSED_PAD src0_sel:BYTE_0 src1_sel:DWORD
	v_lshrrev_b16_e32 v33, 12, v0
	v_mul_lo_u16_e32 v0, 17, v33
	v_sub_u16_e32 v44, v32, v0
	v_mov_b32_e32 v0, 9
	v_mul_u32_u24_sdwa v0, v44, v0 dst_sel:DWORD dst_unused:UNUSED_PAD src0_sel:BYTE_0 src1_sel:DWORD
	v_lshlrev_b32_e32 v16, 3, v0
	s_waitcnt lgkmcnt(0)
	s_barrier
	global_load_dwordx4 v[0:3], v16, s[8:9]
	global_load_dwordx4 v[4:7], v16, s[8:9] offset:16
	global_load_dwordx4 v[8:11], v16, s[8:9] offset:32
	;; [unrolled: 1-line block ×3, first 2 shown]
	global_load_dwordx2 v[42:43], v16, s[8:9] offset:64
	ds_read2_b64 v[16:19], v46 offset1:187
	v_add_u32_e32 v20, 0xa00, v46
	v_add_u32_e32 v24, 0x1600, v46
	;; [unrolled: 1-line block ×4, first 2 shown]
	ds_read2_b64 v[20:23], v20 offset0:54 offset1:241
	ds_read2_b64 v[24:27], v24 offset0:44 offset1:231
	;; [unrolled: 1-line block ×4, first 2 shown]
	s_movk_i32 s4, 0xaa
	v_cmp_gt_u32_e32 vcc, s4, v32
	s_waitcnt vmcnt(0) lgkmcnt(0)
	s_barrier
	v_mul_f32_e32 v47, v3, v21
	v_mul_f32_e32 v45, v1, v19
	;; [unrolled: 1-line block ×8, first 2 shown]
	v_fmac_f32_e32 v47, v2, v20
	v_mul_f32_e32 v53, v39, v15
	v_fmac_f32_e32 v45, v0, v18
	v_fma_f32 v18, v0, v19, -v1
	v_fma_f32 v0, v2, v21, -v3
	v_fmac_f32_e32 v49, v6, v24
	v_fmac_f32_e32 v50, v8, v26
	v_fma_f32 v3, v8, v27, -v9
	v_fmac_f32_e32 v51, v28, v10
	v_add_f32_e32 v8, v16, v47
	v_mul_f32_e32 v48, v5, v23
	v_mul_f32_e32 v5, v5, v22
	;; [unrolled: 1-line block ×7, first 2 shown]
	v_fmac_f32_e32 v53, v38, v14
	v_add_f32_e32 v9, v49, v51
	v_add_f32_e32 v8, v8, v49
	v_fmac_f32_e32 v48, v4, v22
	v_fma_f32 v1, v4, v23, -v5
	v_fma_f32 v2, v6, v25, -v7
	;; [unrolled: 1-line block ×3, first 2 shown]
	v_fmac_f32_e32 v52, v30, v12
	v_fma_f32 v5, v31, v12, -v13
	v_fma_f32 v6, v39, v14, -v15
	v_sub_f32_e32 v12, v47, v49
	v_sub_f32_e32 v13, v53, v51
	v_add_f32_e32 v14, v47, v53
	v_sub_f32_e32 v15, v49, v47
	v_sub_f32_e32 v19, v51, v53
	v_fma_f32 v21, -0.5, v9, v16
	v_add_f32_e32 v8, v8, v51
	v_sub_f32_e32 v10, v0, v6
	v_add_f32_e32 v9, v12, v13
	v_fma_f32 v13, -0.5, v14, v16
	v_add_f32_e32 v12, v15, v19
	v_mov_b32_e32 v15, v21
	v_add_f32_e32 v19, v8, v53
	v_add_f32_e32 v8, v2, v4
	v_sub_f32_e32 v11, v2, v4
	v_fmac_f32_e32 v21, 0x3f737871, v10
	v_mov_b32_e32 v16, v13
	v_fmac_f32_e32 v15, 0xbf737871, v10
	v_fma_f32 v22, -0.5, v8, v17
	v_fmac_f32_e32 v13, 0xbf737871, v11
	v_fmac_f32_e32 v21, 0x3f167918, v11
	;; [unrolled: 1-line block ×4, first 2 shown]
	v_sub_f32_e32 v8, v47, v53
	v_mov_b32_e32 v23, v22
	v_fmac_f32_e32 v13, 0x3f167918, v10
	v_fmac_f32_e32 v21, 0x3e9e377a, v9
	;; [unrolled: 1-line block ×5, first 2 shown]
	v_sub_f32_e32 v9, v49, v51
	v_sub_f32_e32 v10, v0, v2
	;; [unrolled: 1-line block ×3, first 2 shown]
	v_fmac_f32_e32 v22, 0xbf737871, v8
	v_fmac_f32_e32 v23, 0x3f167918, v9
	v_add_f32_e32 v10, v10, v11
	v_fmac_f32_e32 v22, 0xbf167918, v9
	v_fmac_f32_e32 v23, 0x3e9e377a, v10
	;; [unrolled: 1-line block ×3, first 2 shown]
	v_add_f32_e32 v10, v0, v6
	v_add_f32_e32 v20, v17, v0
	v_fma_f32 v17, -0.5, v10, v17
	v_mov_b32_e32 v24, v17
	v_add_f32_e32 v14, v20, v2
	v_fmac_f32_e32 v24, 0xbf737871, v9
	v_sub_f32_e32 v0, v2, v0
	v_sub_f32_e32 v2, v4, v6
	v_fmac_f32_e32 v17, 0x3f737871, v9
	v_fmac_f32_e32 v24, 0x3f167918, v8
	v_add_f32_e32 v0, v0, v2
	v_fmac_f32_e32 v17, 0xbf167918, v8
	v_fmac_f32_e32 v24, 0x3e9e377a, v0
	;; [unrolled: 1-line block ×3, first 2 shown]
	v_add_f32_e32 v0, v45, v48
	v_mul_f32_e32 v54, v41, v43
	v_add_f32_e32 v0, v0, v50
	v_fmac_f32_e32 v54, v40, v42
	v_add_f32_e32 v0, v0, v52
	v_mul_f32_e32 v43, v40, v43
	v_add_f32_e32 v10, v0, v54
	v_add_f32_e32 v0, v50, v52
	v_fma_f32 v7, v41, v42, -v43
	v_fma_f32 v9, -0.5, v0, v45
	v_add_f32_e32 v14, v14, v4
	v_sub_f32_e32 v0, v1, v7
	v_mov_b32_e32 v11, v9
	v_add_f32_e32 v20, v14, v6
	v_fmac_f32_e32 v11, 0xbf737871, v0
	v_sub_f32_e32 v2, v3, v5
	v_sub_f32_e32 v4, v48, v50
	;; [unrolled: 1-line block ×3, first 2 shown]
	v_fmac_f32_e32 v9, 0x3f737871, v0
	v_fmac_f32_e32 v11, 0xbf167918, v2
	v_add_f32_e32 v4, v4, v6
	v_fmac_f32_e32 v9, 0x3f167918, v2
	v_fmac_f32_e32 v11, 0x3e9e377a, v4
	;; [unrolled: 1-line block ×3, first 2 shown]
	v_add_f32_e32 v4, v48, v54
	v_fmac_f32_e32 v45, -0.5, v4
	v_fmac_f32_e32 v13, 0x3e9e377a, v12
	v_fmac_f32_e32 v16, 0x3e9e377a, v12
	v_mov_b32_e32 v12, v45
	v_fmac_f32_e32 v12, 0x3f737871, v2
	v_fmac_f32_e32 v45, 0xbf737871, v2
	;; [unrolled: 1-line block ×4, first 2 shown]
	v_add_f32_e32 v0, v18, v1
	v_add_f32_e32 v0, v0, v3
	;; [unrolled: 1-line block ×5, first 2 shown]
	v_sub_f32_e32 v4, v50, v48
	v_sub_f32_e32 v6, v52, v54
	v_fma_f32 v14, -0.5, v0, v18
	v_add_f32_e32 v4, v4, v6
	v_sub_f32_e32 v0, v48, v54
	v_mov_b32_e32 v26, v14
	v_fmac_f32_e32 v12, 0x3e9e377a, v4
	v_fmac_f32_e32 v45, 0x3e9e377a, v4
	;; [unrolled: 1-line block ×3, first 2 shown]
	v_sub_f32_e32 v2, v50, v52
	v_sub_f32_e32 v4, v1, v3
	;; [unrolled: 1-line block ×3, first 2 shown]
	v_fmac_f32_e32 v14, 0xbf737871, v0
	v_fmac_f32_e32 v26, 0x3f167918, v2
	v_add_f32_e32 v4, v4, v6
	v_fmac_f32_e32 v14, 0xbf167918, v2
	v_fmac_f32_e32 v26, 0x3e9e377a, v4
	;; [unrolled: 1-line block ×3, first 2 shown]
	v_add_f32_e32 v4, v1, v7
	v_fmac_f32_e32 v18, -0.5, v4
	v_mov_b32_e32 v27, v18
	v_fmac_f32_e32 v27, 0xbf737871, v2
	v_sub_f32_e32 v1, v3, v1
	v_sub_f32_e32 v3, v5, v7
	v_fmac_f32_e32 v18, 0x3f737871, v2
	v_fmac_f32_e32 v27, 0x3f167918, v0
	v_add_f32_e32 v1, v1, v3
	v_fmac_f32_e32 v18, 0xbf167918, v0
	v_mul_f32_e32 v31, 0xbf167918, v14
	v_fmac_f32_e32 v27, 0x3e9e377a, v1
	v_fmac_f32_e32 v18, 0x3e9e377a, v1
	;; [unrolled: 1-line block ×3, first 2 shown]
	v_mul_f32_e32 v28, 0xbf167918, v26
	v_mul_f32_e32 v29, 0xbf737871, v27
	;; [unrolled: 1-line block ×3, first 2 shown]
	v_add_f32_e32 v8, v21, v31
	v_mul_f32_e32 v26, 0x3f4f1bbd, v26
	v_mul_f32_e32 v27, 0x3e9e377a, v27
	;; [unrolled: 1-line block ×4, first 2 shown]
	v_sub_f32_e32 v18, v21, v31
	v_mov_b32_e32 v21, 3
	v_fmac_f32_e32 v28, 0x3f4f1bbd, v11
	v_fmac_f32_e32 v29, 0x3e9e377a, v12
	;; [unrolled: 1-line block ×3, first 2 shown]
	v_add_f32_e32 v1, v20, v25
	v_fmac_f32_e32 v26, 0x3f167918, v11
	v_fmac_f32_e32 v27, 0x3f737871, v12
	;; [unrolled: 1-line block ×4, first 2 shown]
	v_sub_f32_e32 v11, v20, v25
	v_mul_u32_u24_e32 v20, 0x550, v33
	v_lshlrev_b32_sdwa v21, v21, v44 dst_sel:DWORD dst_unused:UNUSED_PAD src0_sel:DWORD src1_sel:BYTE_0
	v_add_f32_e32 v0, v19, v10
	v_add_f32_e32 v2, v15, v28
	;; [unrolled: 1-line block ×8, first 2 shown]
	v_sub_f32_e32 v10, v19, v10
	v_sub_f32_e32 v12, v15, v28
	;; [unrolled: 1-line block ×8, first 2 shown]
	v_add3_u32 v20, 0, v20, v21
	ds_write2_b64 v20, v[0:1], v[2:3] offset1:17
	ds_write2_b64 v20, v[4:5], v[6:7] offset0:34 offset1:51
	ds_write2_b64 v20, v[8:9], v[10:11] offset0:68 offset1:85
	;; [unrolled: 1-line block ×4, first 2 shown]
	s_waitcnt lgkmcnt(0)
	s_barrier
	s_and_saveexec_b64 s[4:5], vcc
	s_cbranch_execz .LBB0_15
; %bb.14:
	v_add_u32_e32 v4, 0x800, v46
	v_add_u32_e32 v8, 0x1400, v46
	;; [unrolled: 1-line block ×4, first 2 shown]
	ds_read2_b64 v[0:3], v46 offset1:170
	ds_read2_b64 v[4:7], v4 offset0:84 offset1:254
	ds_read2_b64 v[8:11], v8 offset0:40 offset1:210
	;; [unrolled: 1-line block ×4, first 2 shown]
	ds_read_b64 v[36:37], v46 offset:13600
.LBB0_15:
	s_or_b64 exec, exec, s[4:5]
	s_waitcnt lgkmcnt(0)
	s_barrier
	s_and_saveexec_b64 s[4:5], vcc
	s_cbranch_execz .LBB0_17
; %bb.16:
	v_add_u32_e32 v20, 0xffffff56, v32
	v_cndmask_b32_e32 v20, v20, v32, vcc
	v_mul_i32_i24_e32 v20, 10, v20
	v_mov_b32_e32 v21, 0
	v_lshlrev_b64 v[20:21], 3, v[20:21]
	v_mov_b32_e32 v22, s9
	v_add_co_u32_e32 v47, vcc, s8, v20
	v_addc_co_u32_e32 v48, vcc, v22, v21, vcc
	global_load_dwordx4 v[20:23], v[47:48], off offset:1224
	global_load_dwordx4 v[24:27], v[47:48], off offset:1288
	;; [unrolled: 1-line block ×5, first 2 shown]
	s_mov_b32 s6, 0xbe11bafb
	s_mov_b32 s7, 0xbf75a155
	;; [unrolled: 1-line block ×5, first 2 shown]
	s_waitcnt vmcnt(4)
	v_mul_f32_e32 v33, v3, v21
	s_waitcnt vmcnt(3)
	v_mul_f32_e32 v47, v37, v27
	v_mul_f32_e32 v27, v36, v27
	;; [unrolled: 1-line block ×7, first 2 shown]
	s_waitcnt vmcnt(2)
	v_mul_f32_e32 v50, v7, v29
	v_mul_f32_e32 v29, v6, v29
	v_fmac_f32_e32 v33, v2, v20
	v_fmac_f32_e32 v47, v36, v26
	s_waitcnt vmcnt(1)
	v_mul_f32_e32 v51, v17, v41
	s_waitcnt vmcnt(0)
	v_mul_f32_e32 v55, v13, v45
	v_fma_f32 v26, v37, v26, -v27
	v_fma_f32 v20, v3, v20, -v21
	v_fmac_f32_e32 v48, v4, v22
	v_fmac_f32_e32 v49, v18, v24
	v_fma_f32 v18, v19, v24, -v25
	v_fma_f32 v19, v5, v22, -v23
	v_fmac_f32_e32 v50, v6, v28
	v_fma_f32 v22, v7, v28, -v29
	v_sub_f32_e32 v28, v33, v47
	v_mul_f32_e32 v41, v16, v41
	v_mul_f32_e32 v52, v9, v31
	;; [unrolled: 1-line block ×5, first 2 shown]
	v_fmac_f32_e32 v51, v16, v40
	v_fmac_f32_e32 v55, v12, v44
	v_add_f32_e32 v16, v20, v26
	v_sub_f32_e32 v29, v48, v49
	v_mul_f32_e32 v12, 0xbf7d64f0, v28
	v_mul_f32_e32 v39, v14, v39
	;; [unrolled: 1-line block ×3, first 2 shown]
	v_fma_f32 v21, v17, v40, -v41
	v_fmac_f32_e32 v52, v8, v30
	v_fmac_f32_e32 v53, v14, v38
	v_fma_f32 v24, v9, v30, -v31
	v_fma_f32 v25, v13, v44, -v45
	v_add_f32_e32 v17, v19, v18
	v_sub_f32_e32 v30, v50, v51
	v_mul_f32_e32 v13, 0x3e903f40, v29
	v_mov_b32_e32 v2, v12
	v_fma_f32 v12, v16, s6, -v12
	v_mul_f32_e32 v43, v10, v43
	v_fma_f32 v23, v15, v38, -v39
	v_fmac_f32_e32 v54, v10, v42
	v_add_f32_e32 v31, v22, v21
	v_sub_f32_e32 v36, v52, v53
	v_mul_f32_e32 v14, 0x3f68dda4, v30
	v_mov_b32_e32 v3, v13
	v_fmac_f32_e32 v2, 0xbe11bafb, v16
	v_add_f32_e32 v12, v1, v12
	v_fma_f32 v13, v17, s7, -v13
	v_fma_f32 v27, v11, v42, -v43
	v_add_f32_e32 v37, v24, v23
	v_sub_f32_e32 v38, v54, v55
	v_sub_f32_e32 v41, v20, v26
	v_mul_f32_e32 v15, 0xbf0a6770, v36
	v_mov_b32_e32 v4, v14
	v_fmac_f32_e32 v3, 0xbf75a155, v17
	v_add_f32_e32 v2, v1, v2
	v_add_f32_e32 v12, v13, v12
	v_fma_f32 v13, v31, s10, -v14
	v_add_f32_e32 v39, v27, v25
	v_add_f32_e32 v40, v33, v47
	v_mul_f32_e32 v44, 0xbf4178ce, v38
	v_mul_f32_e32 v45, 0xbf7d64f0, v41
	v_mov_b32_e32 v5, v15
	v_fmac_f32_e32 v4, 0x3ed4b147, v31
	v_add_f32_e32 v2, v3, v2
	v_add_f32_e32 v12, v13, v12
	v_fma_f32 v13, v37, s11, -v15
	v_sub_f32_e32 v43, v19, v18
	v_mov_b32_e32 v6, v44
	v_fma_f32 v7, v40, s6, -v45
	v_fmac_f32_e32 v5, 0x3f575c64, v37
	v_add_f32_e32 v2, v4, v2
	v_add_f32_e32 v12, v13, v12
	v_fma_f32 v13, v39, s12, -v44
	v_fmac_f32_e32 v45, 0xbe11bafb, v40
	v_mul_f32_e32 v44, 0x3ed4b147, v16
	v_add_f32_e32 v42, v48, v49
	v_fmac_f32_e32 v6, 0xbf27a4f4, v39
	v_add_f32_e32 v2, v5, v2
	v_mul_f32_e32 v56, 0x3e903f40, v43
	v_sub_f32_e32 v58, v22, v21
	v_add_f32_e32 v13, v13, v12
	v_add_f32_e32 v12, v0, v45
	v_mov_b32_e32 v14, v44
	v_mul_f32_e32 v45, 0xbf27a4f4, v17
	v_add_f32_e32 v7, v0, v7
	v_add_f32_e32 v3, v6, v2
	v_fma_f32 v2, v42, s7, -v56
	v_add_f32_e32 v57, v50, v51
	v_mul_f32_e32 v59, 0x3f68dda4, v58
	v_sub_f32_e32 v61, v24, v23
	v_fmac_f32_e32 v56, 0xbf75a155, v42
	v_fmac_f32_e32 v14, 0x3f68dda4, v28
	v_mov_b32_e32 v15, v45
	v_add_f32_e32 v2, v2, v7
	v_fma_f32 v4, v57, s10, -v59
	v_add_f32_e32 v60, v52, v53
	v_mul_f32_e32 v62, 0xbf0a6770, v61
	v_sub_f32_e32 v64, v27, v25
	v_add_f32_e32 v12, v56, v12
	v_add_f32_e32 v14, v1, v14
	v_fmac_f32_e32 v15, 0x3f4178ce, v29
	v_mul_f32_e32 v56, 0xbf75a155, v31
	v_add_f32_e32 v2, v4, v2
	v_fma_f32 v4, v60, s11, -v62
	v_add_f32_e32 v63, v54, v55
	v_mul_f32_e32 v65, 0xbf4178ce, v64
	v_fmac_f32_e32 v59, 0x3ed4b147, v57
	v_add_f32_e32 v14, v15, v14
	v_mov_b32_e32 v15, v56
	v_add_f32_e32 v2, v4, v2
	v_fma_f32 v4, v63, s12, -v65
	v_mul_f32_e32 v10, 0xbf4178ce, v28
	v_add_f32_e32 v12, v59, v12
	v_fmac_f32_e32 v15, 0xbe903f40, v30
	v_mul_f32_e32 v59, 0xbe11bafb, v37
	v_add_f32_e32 v2, v4, v2
	v_mov_b32_e32 v4, v10
	v_mul_f32_e32 v11, 0x3f7d64f0, v29
	v_fmac_f32_e32 v62, 0x3f575c64, v60
	v_add_f32_e32 v14, v15, v14
	v_mov_b32_e32 v15, v59
	v_fmac_f32_e32 v4, 0xbf27a4f4, v16
	v_mov_b32_e32 v5, v11
	v_add_f32_e32 v12, v62, v12
	v_fmac_f32_e32 v15, 0xbf7d64f0, v36
	v_mul_f32_e32 v62, 0x3f575c64, v39
	v_add_f32_e32 v4, v1, v4
	v_fmac_f32_e32 v5, 0xbe11bafb, v17
	v_mul_f32_e32 v66, 0xbf0a6770, v30
	v_fma_f32 v10, v16, s12, -v10
	v_fmac_f32_e32 v65, 0xbf27a4f4, v63
	v_add_f32_e32 v14, v15, v14
	v_mov_b32_e32 v15, v62
	v_add_f32_e32 v4, v5, v4
	v_mov_b32_e32 v5, v66
	v_add_f32_e32 v10, v1, v10
	v_fma_f32 v11, v17, s6, -v11
	v_add_f32_e32 v12, v65, v12
	v_fmac_f32_e32 v15, 0xbf0a6770, v38
	v_mul_f32_e32 v65, 0xbf68dda4, v41
	v_fmac_f32_e32 v5, 0x3f575c64, v31
	v_mul_f32_e32 v67, 0xbe903f40, v36
	v_add_f32_e32 v10, v11, v10
	v_fma_f32 v11, v31, s11, -v66
	v_add_f32_e32 v15, v15, v14
	v_mov_b32_e32 v14, v65
	v_mul_f32_e32 v66, 0xbf4178ce, v43
	v_add_f32_e32 v4, v5, v4
	v_mov_b32_e32 v5, v67
	v_add_f32_e32 v10, v11, v10
	v_fma_f32 v11, v37, s7, -v67
	v_fmac_f32_e32 v14, 0x3ed4b147, v40
	v_mov_b32_e32 v67, v66
	v_add_f32_e32 v14, v0, v14
	v_fmac_f32_e32 v67, 0xbf27a4f4, v42
	v_fmac_f32_e32 v5, 0xbf75a155, v37
	v_mul_f32_e32 v68, 0x3f68dda4, v38
	v_add_f32_e32 v14, v67, v14
	v_mul_f32_e32 v67, 0x3e903f40, v58
	v_add_f32_e32 v4, v5, v4
	v_mov_b32_e32 v5, v68
	v_add_f32_e32 v10, v11, v10
	v_fma_f32 v11, v39, s10, -v68
	v_mov_b32_e32 v68, v67
	v_fmac_f32_e32 v5, 0x3ed4b147, v39
	v_mul_f32_e32 v69, 0xbf4178ce, v41
	v_fmac_f32_e32 v68, 0xbf75a155, v57
	v_add_f32_e32 v5, v5, v4
	v_fma_f32 v4, v40, s12, -v69
	v_mul_f32_e32 v70, 0x3f7d64f0, v43
	v_fmac_f32_e32 v69, 0xbf27a4f4, v40
	v_add_f32_e32 v14, v68, v14
	v_mul_f32_e32 v68, 0x3f7d64f0, v61
	v_add_f32_e32 v4, v0, v4
	v_fma_f32 v6, v42, s6, -v70
	v_mul_f32_e32 v71, 0xbf0a6770, v58
	v_add_f32_e32 v11, v11, v10
	v_add_f32_e32 v10, v0, v69
	v_mov_b32_e32 v69, v68
	v_add_f32_e32 v4, v6, v4
	v_fma_f32 v6, v57, s11, -v71
	v_mul_f32_e32 v72, 0xbe903f40, v61
	v_fmac_f32_e32 v69, 0xbe11bafb, v60
	v_add_f32_e32 v4, v6, v4
	v_fma_f32 v6, v60, s7, -v72
	v_mul_f32_e32 v73, 0x3f68dda4, v64
	v_fmac_f32_e32 v70, 0xbe11bafb, v42
	v_add_f32_e32 v14, v69, v14
	v_mul_f32_e32 v69, 0x3f0a6770, v64
	v_add_f32_e32 v4, v6, v4
	v_fma_f32 v6, v63, s10, -v73
	v_mul_f32_e32 v8, 0xbe903f40, v28
	v_add_f32_e32 v10, v70, v10
	v_mov_b32_e32 v70, v69
	v_add_f32_e32 v4, v6, v4
	v_mov_b32_e32 v6, v8
	v_mul_f32_e32 v9, 0x3f0a6770, v29
	v_fmac_f32_e32 v70, 0x3f575c64, v63
	v_fmac_f32_e32 v6, 0xbf75a155, v16
	v_mov_b32_e32 v7, v9
	v_fmac_f32_e32 v71, 0x3f575c64, v57
	v_add_f32_e32 v14, v70, v14
	v_mul_f32_e32 v70, 0x3f575c64, v16
	v_add_f32_e32 v6, v1, v6
	v_fmac_f32_e32 v7, 0x3f575c64, v17
	v_mul_f32_e32 v74, 0xbf4178ce, v30
	v_fma_f32 v8, v16, s7, -v8
	v_add_f32_e32 v10, v71, v10
	v_mov_b32_e32 v16, v70
	v_mul_f32_e32 v71, 0x3ed4b147, v17
	v_add_f32_e32 v20, v1, v20
	v_add_f32_e32 v6, v7, v6
	v_mov_b32_e32 v7, v74
	v_add_f32_e32 v8, v1, v8
	v_fma_f32 v9, v17, s11, -v9
	v_fmac_f32_e32 v16, 0x3f0a6770, v28
	v_mov_b32_e32 v17, v71
	v_add_f32_e32 v19, v20, v19
	v_fmac_f32_e32 v7, 0xbf27a4f4, v31
	v_mul_f32_e32 v75, 0x3f68dda4, v36
	v_add_f32_e32 v8, v9, v8
	v_fma_f32 v9, v31, s12, -v74
	v_add_f32_e32 v16, v1, v16
	v_fmac_f32_e32 v17, 0x3f68dda4, v29
	v_mul_f32_e32 v31, 0xbe11bafb, v31
	v_add_f32_e32 v19, v19, v22
	v_add_f32_e32 v6, v7, v6
	v_mov_b32_e32 v7, v75
	v_add_f32_e32 v16, v17, v16
	v_mov_b32_e32 v17, v31
	v_add_f32_e32 v19, v19, v24
	v_fmac_f32_e32 v7, 0x3ed4b147, v37
	v_mul_f32_e32 v76, 0xbf7d64f0, v38
	v_add_f32_e32 v8, v9, v8
	v_fma_f32 v9, v37, s10, -v75
	v_fmac_f32_e32 v17, 0x3f7d64f0, v30
	v_mul_f32_e32 v37, 0xbf27a4f4, v37
	v_add_f32_e32 v19, v19, v27
	v_add_f32_e32 v6, v7, v6
	v_mov_b32_e32 v7, v76
	v_add_f32_e32 v16, v17, v16
	v_mov_b32_e32 v17, v37
	v_add_f32_e32 v19, v19, v25
	v_fmac_f32_e32 v7, 0xbe11bafb, v39
	v_add_f32_e32 v8, v9, v8
	v_fma_f32 v9, v39, s6, -v76
	v_fmac_f32_e32 v17, 0x3f4178ce, v36
	v_mul_f32_e32 v39, 0xbf75a155, v39
	v_add_f32_e32 v19, v19, v23
	v_add_f32_e32 v16, v17, v16
	v_mov_b32_e32 v17, v39
	v_add_f32_e32 v19, v19, v21
	v_mul_f32_e32 v77, 0xbe903f40, v41
	v_fmac_f32_e32 v17, 0x3e903f40, v38
	v_mul_f32_e32 v41, 0xbf0a6770, v41
	v_add_f32_e32 v18, v19, v18
	v_fmac_f32_e32 v44, 0xbf68dda4, v28
	v_add_f32_e32 v7, v7, v6
	v_fma_f32 v6, v40, s7, -v77
	v_mul_f32_e32 v78, 0x3f0a6770, v43
	v_fmac_f32_e32 v72, 0xbf75a155, v60
	v_add_f32_e32 v17, v17, v16
	v_mov_b32_e32 v16, v41
	v_mul_f32_e32 v43, 0xbf68dda4, v43
	v_add_f32_e32 v19, v18, v26
	v_add_f32_e32 v18, v0, v33
	;; [unrolled: 1-line block ×3, first 2 shown]
	v_fmac_f32_e32 v45, 0xbf4178ce, v29
	v_add_f32_e32 v6, v0, v6
	v_fma_f32 v79, v42, s11, -v78
	v_add_f32_e32 v10, v72, v10
	v_fmac_f32_e32 v16, 0x3f575c64, v40
	v_mov_b32_e32 v72, v43
	v_add_f32_e32 v18, v18, v48
	v_add_f32_e32 v20, v45, v20
	v_fmac_f32_e32 v56, 0x3e903f40, v30
	v_add_f32_e32 v6, v79, v6
	v_mul_f32_e32 v79, 0xbf4178ce, v58
	v_add_f32_e32 v16, v0, v16
	v_fmac_f32_e32 v72, 0x3ed4b147, v42
	v_mul_f32_e32 v58, 0xbf7d64f0, v58
	v_add_f32_e32 v18, v18, v50
	v_add_f32_e32 v20, v56, v20
	v_fmac_f32_e32 v59, 0x3f7d64f0, v36
	v_fma_f32 v80, v57, s12, -v79
	v_add_f32_e32 v16, v72, v16
	v_mov_b32_e32 v72, v58
	v_add_f32_e32 v18, v18, v52
	v_add_f32_e32 v20, v59, v20
	v_fmac_f32_e32 v62, 0x3f0a6770, v38
	v_add_f32_e32 v6, v80, v6
	v_mul_f32_e32 v80, 0x3f68dda4, v61
	v_fmac_f32_e32 v72, 0xbe11bafb, v57
	v_mul_f32_e32 v61, 0xbf4178ce, v61
	v_add_f32_e32 v18, v18, v54
	v_add_f32_e32 v21, v62, v20
	v_fma_f32 v20, v40, s10, -v65
	v_fma_f32 v81, v60, s10, -v80
	v_add_f32_e32 v16, v72, v16
	v_mov_b32_e32 v72, v61
	v_add_f32_e32 v18, v18, v55
	v_add_f32_e32 v20, v0, v20
	v_fma_f32 v22, v42, s12, -v66
	v_add_f32_e32 v6, v81, v6
	v_mul_f32_e32 v81, 0xbf7d64f0, v64
	v_fmac_f32_e32 v77, 0xbf75a155, v40
	v_fmac_f32_e32 v72, 0xbf27a4f4, v60
	v_mul_f32_e32 v64, 0xbe903f40, v64
	v_add_f32_e32 v18, v18, v53
	v_add_f32_e32 v20, v22, v20
	v_fma_f32 v22, v57, s7, -v67
	v_add_f32_e32 v9, v9, v8
	v_add_f32_e32 v8, v0, v77
	v_fmac_f32_e32 v78, 0x3f575c64, v42
	v_add_f32_e32 v16, v72, v16
	v_mov_b32_e32 v72, v64
	v_add_f32_e32 v18, v18, v51
	v_add_f32_e32 v20, v22, v20
	v_fma_f32 v22, v60, s6, -v68
	v_add_f32_e32 v8, v78, v8
	v_fmac_f32_e32 v79, 0xbf27a4f4, v57
	v_fmac_f32_e32 v72, 0xbf75a155, v63
	v_add_f32_e32 v18, v18, v49
	v_add_f32_e32 v20, v22, v20
	v_fma_f32 v22, v63, s11, -v69
	v_add_f32_e32 v8, v79, v8
	v_fmac_f32_e32 v80, 0x3ed4b147, v60
	v_add_f32_e32 v16, v72, v16
	v_add_f32_e32 v18, v18, v47
	;; [unrolled: 1-line block ×3, first 2 shown]
	v_fmac_f32_e32 v70, 0xbf0a6770, v28
	v_fma_f32 v22, v40, s11, -v41
	v_fma_f32 v82, v63, s6, -v81
	v_add_f32_e32 v8, v80, v8
	v_fmac_f32_e32 v81, 0xbe11bafb, v63
	v_fmac_f32_e32 v73, 0x3ed4b147, v63
	v_add_f32_e32 v1, v1, v70
	v_fmac_f32_e32 v71, 0xbf68dda4, v29
	v_add_f32_e32 v0, v0, v22
	v_fma_f32 v22, v42, s10, -v43
	ds_write2_b64 v46, v[18:19], v[16:17] offset1:170
	v_add_u32_e32 v16, 0x800, v46
	v_add_f32_e32 v8, v81, v8
	v_add_f32_e32 v10, v73, v10
	;; [unrolled: 1-line block ×3, first 2 shown]
	v_fmac_f32_e32 v31, 0xbf7d64f0, v30
	v_add_f32_e32 v0, v22, v0
	v_fma_f32 v22, v57, s6, -v58
	ds_write2_b64 v16, v[14:15], v[12:13] offset0:84 offset1:254
	v_add_u32_e32 v12, 0x1400, v46
	v_add_f32_e32 v6, v82, v6
	v_add_f32_e32 v1, v31, v1
	v_fmac_f32_e32 v37, 0xbf4178ce, v36
	v_add_f32_e32 v0, v22, v0
	v_fma_f32 v22, v60, s12, -v61
	ds_write2_b64 v12, v[10:11], v[8:9] offset0:40 offset1:210
	v_add_u32_e32 v8, 0x1e00, v46
	v_add_f32_e32 v1, v37, v1
	v_fmac_f32_e32 v39, 0xbe903f40, v38
	v_add_f32_e32 v0, v22, v0
	v_fma_f32 v22, v63, s7, -v64
	ds_write2_b64 v8, v[6:7], v[4:5] offset0:60 offset1:230
	v_add_u32_e32 v4, 0x2800, v46
	v_add_f32_e32 v1, v39, v1
	v_add_f32_e32 v0, v22, v0
	ds_write2_b64 v4, v[2:3], v[20:21] offset0:80 offset1:250
	ds_write_b64 v46, v[0:1] offset:13600
.LBB0_17:
	s_or_b64 exec, exec, s[4:5]
	s_waitcnt lgkmcnt(0)
	s_barrier
	ds_read_b64 v[0:1], v46
	s_add_u32 s6, s8, 0x39e8
	v_lshlrev_b32_e32 v2, 3, v32
	s_addc_u32 s7, s9, 0
	v_sub_u32_e32 v6, 0, v2
	v_cmp_ne_u32_e32 vcc, 0, v32
                                        ; implicit-def: $vgpr2
                                        ; implicit-def: $vgpr7
                                        ; implicit-def: $vgpr8
                                        ; implicit-def: $vgpr4_vgpr5
	s_and_saveexec_b64 s[4:5], vcc
	s_xor_b64 s[4:5], exec, s[4:5]
	s_cbranch_execz .LBB0_19
; %bb.18:
	v_mov_b32_e32 v33, 0
	v_lshlrev_b64 v[2:3], 3, v[32:33]
	v_mov_b32_e32 v4, s7
	v_add_co_u32_e32 v2, vcc, s6, v2
	v_addc_co_u32_e32 v3, vcc, v4, v3, vcc
	global_load_dwordx2 v[2:3], v[2:3], off
	ds_read_b64 v[4:5], v6 offset:14960
	s_waitcnt lgkmcnt(0)
	v_add_f32_e32 v9, v4, v0
	v_sub_f32_e32 v0, v0, v4
	v_add_f32_e32 v7, v5, v1
	v_sub_f32_e32 v1, v1, v5
	v_mul_f32_e32 v0, 0.5, v0
	v_mul_f32_e32 v4, 0.5, v7
	;; [unrolled: 1-line block ×3, first 2 shown]
	s_waitcnt vmcnt(0)
	v_mul_f32_e32 v5, v3, v0
	v_fma_f32 v8, v4, v3, v1
	v_fma_f32 v1, v4, v3, -v1
	v_fma_f32 v7, 0.5, v9, v5
	v_fma_f32 v5, v9, 0.5, -v5
	v_fma_f32 v8, -v2, v0, v8
	v_fma_f32 v3, -v2, v0, v1
	v_fmac_f32_e32 v7, v2, v4
	v_fma_f32 v2, -v2, v4, v5
	v_mov_b32_e32 v4, v32
	v_mov_b32_e32 v5, v33
                                        ; implicit-def: $vgpr0_vgpr1
.LBB0_19:
	s_andn2_saveexec_b64 s[4:5], s[4:5]
	s_cbranch_execz .LBB0_21
; %bb.20:
	v_mov_b32_e32 v8, 0
	ds_read_b32 v3, v8 offset:7484
	v_mov_b32_e32 v4, 0
	s_waitcnt lgkmcnt(1)
	v_add_f32_e32 v7, v0, v1
	v_sub_f32_e32 v2, v0, v1
	v_mov_b32_e32 v5, 0
	s_waitcnt lgkmcnt(0)
	v_xor_b32_e32 v0, 0x80000000, v3
	v_mov_b32_e32 v3, 0
	ds_write_b32 v8, v0 offset:7484
.LBB0_21:
	s_or_b64 exec, exec, s[4:5]
	s_waitcnt lgkmcnt(0)
	v_lshlrev_b64 v[0:1], 3, v[4:5]
	v_mov_b32_e32 v5, s7
	v_add_co_u32_e32 v4, vcc, s6, v0
	v_addc_co_u32_e32 v5, vcc, v5, v1, vcc
	global_load_dwordx2 v[9:10], v[4:5], off offset:1496
	global_load_dwordx2 v[11:12], v[4:5], off offset:2992
	s_movk_i32 s4, 0x1000
	v_add_co_u32_e32 v4, vcc, s4, v4
	v_addc_co_u32_e32 v5, vcc, 0, v5, vcc
	global_load_dwordx2 v[13:14], v[4:5], off offset:392
	ds_write2_b32 v46, v7, v8 offset1:1
	ds_write_b64 v6, v[2:3] offset:14960
	ds_read_b64 v[2:3], v46 offset:1496
	ds_read_b64 v[7:8], v6 offset:13464
	global_load_dwordx2 v[4:5], v[4:5], off offset:1888
	v_add_u32_e32 v15, 0x400, v46
	s_waitcnt lgkmcnt(0)
	v_add_f32_e32 v16, v2, v7
	v_sub_f32_e32 v2, v2, v7
	v_add_f32_e32 v17, v3, v8
	v_sub_f32_e32 v3, v3, v8
	v_mul_f32_e32 v2, 0.5, v2
	v_mul_f32_e32 v7, 0.5, v17
	;; [unrolled: 1-line block ×3, first 2 shown]
	s_waitcnt vmcnt(3)
	v_mul_f32_e32 v8, v10, v2
	v_fma_f32 v17, v7, v10, v3
	v_fma_f32 v3, v7, v10, -v3
	v_fma_f32 v10, 0.5, v16, v8
	v_fma_f32 v17, -v9, v2, v17
	v_fma_f32 v8, v16, 0.5, -v8
	v_fmac_f32_e32 v10, v9, v7
	v_fma_f32 v3, -v9, v2, v3
	v_fma_f32 v2, -v9, v7, v8
	ds_write2_b32 v15, v10, v17 offset0:118 offset1:119
	ds_write_b64 v6, v[2:3] offset:13464
	ds_read_b64 v[2:3], v46 offset:2992
	ds_read_b64 v[7:8], v6 offset:11968
	v_add_u32_e32 v9, 0x800, v46
	s_waitcnt lgkmcnt(0)
	v_add_f32_e32 v10, v2, v7
	v_sub_f32_e32 v2, v2, v7
	v_add_f32_e32 v15, v3, v8
	v_sub_f32_e32 v3, v3, v8
	v_mul_f32_e32 v2, 0.5, v2
	v_mul_f32_e32 v7, 0.5, v15
	;; [unrolled: 1-line block ×3, first 2 shown]
	s_waitcnt vmcnt(2)
	v_mul_f32_e32 v8, v12, v2
	v_fma_f32 v15, v7, v12, v3
	v_fma_f32 v3, v7, v12, -v3
	v_fma_f32 v12, 0.5, v10, v8
	v_fma_f32 v15, -v11, v2, v15
	v_fma_f32 v8, v10, 0.5, -v8
	v_fmac_f32_e32 v12, v11, v7
	v_fma_f32 v3, -v11, v2, v3
	v_fma_f32 v2, -v11, v7, v8
	ds_write2_b32 v9, v12, v15 offset0:236 offset1:237
	ds_write_b64 v6, v[2:3] offset:11968
	ds_read_b64 v[2:3], v46 offset:4488
	ds_read_b64 v[7:8], v6 offset:10472
	v_add_u32_e32 v9, 0x1000, v46
	s_waitcnt lgkmcnt(0)
	v_add_f32_e32 v10, v2, v7
	v_sub_f32_e32 v2, v2, v7
	v_add_f32_e32 v11, v3, v8
	v_sub_f32_e32 v3, v3, v8
	v_mul_f32_e32 v2, 0.5, v2
	v_mul_f32_e32 v7, 0.5, v11
	;; [unrolled: 1-line block ×3, first 2 shown]
	s_waitcnt vmcnt(1)
	v_mul_f32_e32 v8, v14, v2
	v_fma_f32 v11, v7, v14, v3
	v_fma_f32 v12, 0.5, v10, v8
	v_fma_f32 v3, v7, v14, -v3
	v_fma_f32 v11, -v13, v2, v11
	v_fma_f32 v8, v10, 0.5, -v8
	v_fmac_f32_e32 v12, v13, v7
	v_fma_f32 v3, -v13, v2, v3
	v_fma_f32 v2, -v13, v7, v8
	ds_write2_b32 v9, v12, v11 offset0:98 offset1:99
	ds_write_b64 v6, v[2:3] offset:10472
	ds_read_b64 v[2:3], v46 offset:5984
	ds_read_b64 v[7:8], v6 offset:8976
	v_add_u32_e32 v9, 0x1400, v46
	s_waitcnt lgkmcnt(0)
	v_add_f32_e32 v10, v2, v7
	v_sub_f32_e32 v2, v2, v7
	v_add_f32_e32 v11, v3, v8
	v_sub_f32_e32 v3, v3, v8
	v_mul_f32_e32 v2, 0.5, v2
	v_mul_f32_e32 v7, 0.5, v11
	;; [unrolled: 1-line block ×3, first 2 shown]
	s_waitcnt vmcnt(0)
	v_mul_f32_e32 v8, v5, v2
	v_fma_f32 v11, v7, v5, v3
	v_fma_f32 v3, v7, v5, -v3
	v_fma_f32 v5, 0.5, v10, v8
	v_fma_f32 v11, -v4, v2, v11
	v_fma_f32 v8, v10, 0.5, -v8
	v_fmac_f32_e32 v5, v4, v7
	v_fma_f32 v3, -v4, v2, v3
	v_fma_f32 v2, -v4, v7, v8
	ds_write2_b32 v9, v5, v11 offset0:216 offset1:217
	ds_write_b64 v6, v[2:3] offset:8976
	s_waitcnt lgkmcnt(0)
	s_barrier
	s_and_saveexec_b64 s[6:7], s[0:1]
	s_cbranch_execz .LBB0_24
; %bb.22:
	ds_read2_b64 v[4:7], v46 offset1:187
	v_mov_b32_e32 v2, s3
	v_add_co_u32_e32 v3, vcc, s2, v34
	v_add_u32_e32 v8, 0xa00, v46
	v_addc_co_u32_e32 v2, vcc, v2, v35, vcc
	ds_read2_b64 v[8:11], v8 offset0:54 offset1:241
	v_add_co_u32_e32 v0, vcc, v3, v0
	v_addc_co_u32_e32 v1, vcc, v2, v1, vcc
	s_waitcnt lgkmcnt(1)
	global_store_dwordx2 v[0:1], v[4:5], off
	global_store_dwordx2 v[0:1], v[6:7], off offset:1496
	s_waitcnt lgkmcnt(0)
	global_store_dwordx2 v[0:1], v[8:9], off offset:2992
	v_add_u32_e32 v4, 0x1600, v46
	ds_read2_b64 v[4:7], v4 offset0:44 offset1:231
	v_add_co_u32_e32 v8, vcc, s4, v0
	v_addc_co_u32_e32 v9, vcc, 0, v1, vcc
	global_store_dwordx2 v[8:9], v[10:11], off offset:392
	s_waitcnt lgkmcnt(0)
	global_store_dwordx2 v[8:9], v[4:5], off offset:1888
	global_store_dwordx2 v[8:9], v[6:7], off offset:3384
	v_add_u32_e32 v4, 0x2200, v46
	s_movk_i32 s0, 0x2000
	v_add_u32_e32 v8, 0x2e00, v46
	ds_read2_b64 v[4:7], v4 offset0:34 offset1:221
	v_add_co_u32_e32 v12, vcc, s0, v0
	ds_read2_b64 v[8:11], v8 offset0:24 offset1:211
	v_addc_co_u32_e32 v13, vcc, 0, v1, vcc
	v_add_co_u32_e32 v0, vcc, 0x3000, v0
	v_addc_co_u32_e32 v1, vcc, 0, v1, vcc
	s_movk_i32 s0, 0xba
	v_cmp_eq_u32_e32 vcc, s0, v32
	s_waitcnt lgkmcnt(1)
	global_store_dwordx2 v[12:13], v[4:5], off offset:784
	global_store_dwordx2 v[12:13], v[6:7], off offset:2280
	s_waitcnt lgkmcnt(0)
	global_store_dwordx2 v[12:13], v[8:9], off offset:3776
	global_store_dwordx2 v[0:1], v[10:11], off offset:1176
	s_and_b64 exec, exec, vcc
	s_cbranch_execz .LBB0_24
; %bb.23:
	v_mov_b32_e32 v0, 0
	ds_read_b64 v[0:1], v0 offset:14960
	v_add_co_u32_e32 v3, vcc, 0x3000, v3
	v_addc_co_u32_e32 v4, vcc, 0, v2, vcc
	s_waitcnt lgkmcnt(0)
	global_store_dwordx2 v[3:4], v[0:1], off offset:2672
.LBB0_24:
	s_endpgm
	.section	.rodata,"a",@progbits
	.p2align	6, 0x0
	.amdhsa_kernel fft_rtc_back_len1870_factors_17_10_11_wgs_187_tpt_187_halfLds_sp_ip_CI_unitstride_sbrr_R2C_dirReg
		.amdhsa_group_segment_fixed_size 0
		.amdhsa_private_segment_fixed_size 0
		.amdhsa_kernarg_size 88
		.amdhsa_user_sgpr_count 6
		.amdhsa_user_sgpr_private_segment_buffer 1
		.amdhsa_user_sgpr_dispatch_ptr 0
		.amdhsa_user_sgpr_queue_ptr 0
		.amdhsa_user_sgpr_kernarg_segment_ptr 1
		.amdhsa_user_sgpr_dispatch_id 0
		.amdhsa_user_sgpr_flat_scratch_init 0
		.amdhsa_user_sgpr_private_segment_size 0
		.amdhsa_uses_dynamic_stack 0
		.amdhsa_system_sgpr_private_segment_wavefront_offset 0
		.amdhsa_system_sgpr_workgroup_id_x 1
		.amdhsa_system_sgpr_workgroup_id_y 0
		.amdhsa_system_sgpr_workgroup_id_z 0
		.amdhsa_system_sgpr_workgroup_info 0
		.amdhsa_system_vgpr_workitem_id 0
		.amdhsa_next_free_vgpr 158
		.amdhsa_next_free_sgpr 22
		.amdhsa_reserve_vcc 1
		.amdhsa_reserve_flat_scratch 0
		.amdhsa_float_round_mode_32 0
		.amdhsa_float_round_mode_16_64 0
		.amdhsa_float_denorm_mode_32 3
		.amdhsa_float_denorm_mode_16_64 3
		.amdhsa_dx10_clamp 1
		.amdhsa_ieee_mode 1
		.amdhsa_fp16_overflow 0
		.amdhsa_exception_fp_ieee_invalid_op 0
		.amdhsa_exception_fp_denorm_src 0
		.amdhsa_exception_fp_ieee_div_zero 0
		.amdhsa_exception_fp_ieee_overflow 0
		.amdhsa_exception_fp_ieee_underflow 0
		.amdhsa_exception_fp_ieee_inexact 0
		.amdhsa_exception_int_div_zero 0
	.end_amdhsa_kernel
	.text
.Lfunc_end0:
	.size	fft_rtc_back_len1870_factors_17_10_11_wgs_187_tpt_187_halfLds_sp_ip_CI_unitstride_sbrr_R2C_dirReg, .Lfunc_end0-fft_rtc_back_len1870_factors_17_10_11_wgs_187_tpt_187_halfLds_sp_ip_CI_unitstride_sbrr_R2C_dirReg
                                        ; -- End function
	.section	.AMDGPU.csdata,"",@progbits
; Kernel info:
; codeLenInByte = 11576
; NumSgprs: 26
; NumVgprs: 158
; ScratchSize: 0
; MemoryBound: 0
; FloatMode: 240
; IeeeMode: 1
; LDSByteSize: 0 bytes/workgroup (compile time only)
; SGPRBlocks: 3
; VGPRBlocks: 39
; NumSGPRsForWavesPerEU: 26
; NumVGPRsForWavesPerEU: 158
; Occupancy: 1
; WaveLimiterHint : 1
; COMPUTE_PGM_RSRC2:SCRATCH_EN: 0
; COMPUTE_PGM_RSRC2:USER_SGPR: 6
; COMPUTE_PGM_RSRC2:TRAP_HANDLER: 0
; COMPUTE_PGM_RSRC2:TGID_X_EN: 1
; COMPUTE_PGM_RSRC2:TGID_Y_EN: 0
; COMPUTE_PGM_RSRC2:TGID_Z_EN: 0
; COMPUTE_PGM_RSRC2:TIDIG_COMP_CNT: 0
	.type	__hip_cuid_9de9e61ba0d65845,@object ; @__hip_cuid_9de9e61ba0d65845
	.section	.bss,"aw",@nobits
	.globl	__hip_cuid_9de9e61ba0d65845
__hip_cuid_9de9e61ba0d65845:
	.byte	0                               ; 0x0
	.size	__hip_cuid_9de9e61ba0d65845, 1

	.ident	"AMD clang version 19.0.0git (https://github.com/RadeonOpenCompute/llvm-project roc-6.4.0 25133 c7fe45cf4b819c5991fe208aaa96edf142730f1d)"
	.section	".note.GNU-stack","",@progbits
	.addrsig
	.addrsig_sym __hip_cuid_9de9e61ba0d65845
	.amdgpu_metadata
---
amdhsa.kernels:
  - .args:
      - .actual_access:  read_only
        .address_space:  global
        .offset:         0
        .size:           8
        .value_kind:     global_buffer
      - .offset:         8
        .size:           8
        .value_kind:     by_value
      - .actual_access:  read_only
        .address_space:  global
        .offset:         16
        .size:           8
        .value_kind:     global_buffer
      - .actual_access:  read_only
        .address_space:  global
        .offset:         24
        .size:           8
        .value_kind:     global_buffer
      - .offset:         32
        .size:           8
        .value_kind:     by_value
      - .actual_access:  read_only
        .address_space:  global
        .offset:         40
        .size:           8
        .value_kind:     global_buffer
      - .actual_access:  read_only
        .address_space:  global
        .offset:         48
        .size:           8
        .value_kind:     global_buffer
      - .offset:         56
        .size:           4
        .value_kind:     by_value
      - .actual_access:  read_only
        .address_space:  global
        .offset:         64
        .size:           8
        .value_kind:     global_buffer
      - .actual_access:  read_only
        .address_space:  global
        .offset:         72
        .size:           8
        .value_kind:     global_buffer
      - .address_space:  global
        .offset:         80
        .size:           8
        .value_kind:     global_buffer
    .group_segment_fixed_size: 0
    .kernarg_segment_align: 8
    .kernarg_segment_size: 88
    .language:       OpenCL C
    .language_version:
      - 2
      - 0
    .max_flat_workgroup_size: 187
    .name:           fft_rtc_back_len1870_factors_17_10_11_wgs_187_tpt_187_halfLds_sp_ip_CI_unitstride_sbrr_R2C_dirReg
    .private_segment_fixed_size: 0
    .sgpr_count:     26
    .sgpr_spill_count: 0
    .symbol:         fft_rtc_back_len1870_factors_17_10_11_wgs_187_tpt_187_halfLds_sp_ip_CI_unitstride_sbrr_R2C_dirReg.kd
    .uniform_work_group_size: 1
    .uses_dynamic_stack: false
    .vgpr_count:     158
    .vgpr_spill_count: 0
    .wavefront_size: 64
amdhsa.target:   amdgcn-amd-amdhsa--gfx906
amdhsa.version:
  - 1
  - 2
...

	.end_amdgpu_metadata
